;; amdgpu-corpus repo=ROCm/rocFFT kind=compiled arch=gfx1100 opt=O3
	.text
	.amdgcn_target "amdgcn-amd-amdhsa--gfx1100"
	.amdhsa_code_object_version 6
	.protected	fft_rtc_fwd_len3200_factors_10_10_4_4_2_wgs_160_tpt_160_halfLds_sp_ip_CI_sbrr_dirReg ; -- Begin function fft_rtc_fwd_len3200_factors_10_10_4_4_2_wgs_160_tpt_160_halfLds_sp_ip_CI_sbrr_dirReg
	.globl	fft_rtc_fwd_len3200_factors_10_10_4_4_2_wgs_160_tpt_160_halfLds_sp_ip_CI_sbrr_dirReg
	.p2align	8
	.type	fft_rtc_fwd_len3200_factors_10_10_4_4_2_wgs_160_tpt_160_halfLds_sp_ip_CI_sbrr_dirReg,@function
fft_rtc_fwd_len3200_factors_10_10_4_4_2_wgs_160_tpt_160_halfLds_sp_ip_CI_sbrr_dirReg: ; @fft_rtc_fwd_len3200_factors_10_10_4_4_2_wgs_160_tpt_160_halfLds_sp_ip_CI_sbrr_dirReg
; %bb.0:
	s_clause 0x2
	s_load_b64 s[12:13], s[0:1], 0x18
	s_load_b128 s[4:7], s[0:1], 0x0
	s_load_b64 s[10:11], s[0:1], 0x50
	v_mul_u32_u24_e32 v1, 0x19a, v0
	v_mov_b32_e32 v3, 0
	v_mov_b32_e32 v4, 0
	s_delay_alu instid0(VALU_DEP_3) | instskip(SKIP_1) | instid1(VALU_DEP_1)
	v_lshrrev_b32_e32 v2, 16, v1
	v_mov_b32_e32 v1, 0
	v_dual_mov_b32 v6, v1 :: v_dual_add_nc_u32 v5, s15, v2
	s_waitcnt lgkmcnt(0)
	s_load_b64 s[8:9], s[12:13], 0x0
	v_cmp_lt_u64_e64 s2, s[6:7], 2
	s_delay_alu instid0(VALU_DEP_1)
	s_and_b32 vcc_lo, exec_lo, s2
	s_cbranch_vccnz .LBB0_8
; %bb.1:
	s_load_b64 s[2:3], s[0:1], 0x10
	v_mov_b32_e32 v3, 0
	s_add_u32 s14, s12, 8
	v_mov_b32_e32 v4, 0
	s_addc_u32 s15, s13, 0
	s_mov_b64 s[18:19], 1
	s_waitcnt lgkmcnt(0)
	s_add_u32 s16, s2, 8
	s_addc_u32 s17, s3, 0
.LBB0_2:                                ; =>This Inner Loop Header: Depth=1
	s_load_b64 s[20:21], s[16:17], 0x0
                                        ; implicit-def: $vgpr7_vgpr8
	s_mov_b32 s2, exec_lo
	s_waitcnt lgkmcnt(0)
	v_or_b32_e32 v2, s21, v6
	s_delay_alu instid0(VALU_DEP_1)
	v_cmpx_ne_u64_e32 0, v[1:2]
	s_xor_b32 s3, exec_lo, s2
	s_cbranch_execz .LBB0_4
; %bb.3:                                ;   in Loop: Header=BB0_2 Depth=1
	v_cvt_f32_u32_e32 v2, s20
	v_cvt_f32_u32_e32 v7, s21
	s_sub_u32 s2, 0, s20
	s_subb_u32 s22, 0, s21
	s_delay_alu instid0(VALU_DEP_1) | instskip(NEXT) | instid1(VALU_DEP_1)
	v_fmac_f32_e32 v2, 0x4f800000, v7
	v_rcp_f32_e32 v2, v2
	s_waitcnt_depctr 0xfff
	v_mul_f32_e32 v2, 0x5f7ffffc, v2
	s_delay_alu instid0(VALU_DEP_1) | instskip(NEXT) | instid1(VALU_DEP_1)
	v_mul_f32_e32 v7, 0x2f800000, v2
	v_trunc_f32_e32 v7, v7
	s_delay_alu instid0(VALU_DEP_1) | instskip(SKIP_1) | instid1(VALU_DEP_2)
	v_fmac_f32_e32 v2, 0xcf800000, v7
	v_cvt_u32_f32_e32 v7, v7
	v_cvt_u32_f32_e32 v2, v2
	s_delay_alu instid0(VALU_DEP_2) | instskip(NEXT) | instid1(VALU_DEP_2)
	v_mul_lo_u32 v8, s2, v7
	v_mul_hi_u32 v9, s2, v2
	v_mul_lo_u32 v10, s22, v2
	s_delay_alu instid0(VALU_DEP_2) | instskip(SKIP_1) | instid1(VALU_DEP_2)
	v_add_nc_u32_e32 v8, v9, v8
	v_mul_lo_u32 v9, s2, v2
	v_add_nc_u32_e32 v8, v8, v10
	s_delay_alu instid0(VALU_DEP_2) | instskip(NEXT) | instid1(VALU_DEP_2)
	v_mul_hi_u32 v10, v2, v9
	v_mul_lo_u32 v11, v2, v8
	v_mul_hi_u32 v12, v2, v8
	v_mul_hi_u32 v13, v7, v9
	v_mul_lo_u32 v9, v7, v9
	v_mul_hi_u32 v14, v7, v8
	v_mul_lo_u32 v8, v7, v8
	v_add_co_u32 v10, vcc_lo, v10, v11
	v_add_co_ci_u32_e32 v11, vcc_lo, 0, v12, vcc_lo
	s_delay_alu instid0(VALU_DEP_2) | instskip(NEXT) | instid1(VALU_DEP_2)
	v_add_co_u32 v9, vcc_lo, v10, v9
	v_add_co_ci_u32_e32 v9, vcc_lo, v11, v13, vcc_lo
	v_add_co_ci_u32_e32 v10, vcc_lo, 0, v14, vcc_lo
	s_delay_alu instid0(VALU_DEP_2) | instskip(NEXT) | instid1(VALU_DEP_2)
	v_add_co_u32 v8, vcc_lo, v9, v8
	v_add_co_ci_u32_e32 v9, vcc_lo, 0, v10, vcc_lo
	s_delay_alu instid0(VALU_DEP_2) | instskip(NEXT) | instid1(VALU_DEP_2)
	v_add_co_u32 v2, vcc_lo, v2, v8
	v_add_co_ci_u32_e32 v7, vcc_lo, v7, v9, vcc_lo
	s_delay_alu instid0(VALU_DEP_2) | instskip(SKIP_1) | instid1(VALU_DEP_3)
	v_mul_hi_u32 v8, s2, v2
	v_mul_lo_u32 v10, s22, v2
	v_mul_lo_u32 v9, s2, v7
	s_delay_alu instid0(VALU_DEP_1) | instskip(SKIP_1) | instid1(VALU_DEP_2)
	v_add_nc_u32_e32 v8, v8, v9
	v_mul_lo_u32 v9, s2, v2
	v_add_nc_u32_e32 v8, v8, v10
	s_delay_alu instid0(VALU_DEP_2) | instskip(NEXT) | instid1(VALU_DEP_2)
	v_mul_hi_u32 v10, v2, v9
	v_mul_lo_u32 v11, v2, v8
	v_mul_hi_u32 v12, v2, v8
	v_mul_hi_u32 v13, v7, v9
	v_mul_lo_u32 v9, v7, v9
	v_mul_hi_u32 v14, v7, v8
	v_mul_lo_u32 v8, v7, v8
	v_add_co_u32 v10, vcc_lo, v10, v11
	v_add_co_ci_u32_e32 v11, vcc_lo, 0, v12, vcc_lo
	s_delay_alu instid0(VALU_DEP_2) | instskip(NEXT) | instid1(VALU_DEP_2)
	v_add_co_u32 v9, vcc_lo, v10, v9
	v_add_co_ci_u32_e32 v9, vcc_lo, v11, v13, vcc_lo
	v_add_co_ci_u32_e32 v10, vcc_lo, 0, v14, vcc_lo
	s_delay_alu instid0(VALU_DEP_2) | instskip(NEXT) | instid1(VALU_DEP_2)
	v_add_co_u32 v8, vcc_lo, v9, v8
	v_add_co_ci_u32_e32 v9, vcc_lo, 0, v10, vcc_lo
	s_delay_alu instid0(VALU_DEP_2) | instskip(NEXT) | instid1(VALU_DEP_2)
	v_add_co_u32 v2, vcc_lo, v2, v8
	v_add_co_ci_u32_e32 v13, vcc_lo, v7, v9, vcc_lo
	s_delay_alu instid0(VALU_DEP_2) | instskip(SKIP_1) | instid1(VALU_DEP_3)
	v_mul_hi_u32 v14, v5, v2
	v_mad_u64_u32 v[9:10], null, v6, v2, 0
	v_mad_u64_u32 v[7:8], null, v5, v13, 0
	;; [unrolled: 1-line block ×3, first 2 shown]
	s_delay_alu instid0(VALU_DEP_2) | instskip(NEXT) | instid1(VALU_DEP_3)
	v_add_co_u32 v2, vcc_lo, v14, v7
	v_add_co_ci_u32_e32 v7, vcc_lo, 0, v8, vcc_lo
	s_delay_alu instid0(VALU_DEP_2) | instskip(NEXT) | instid1(VALU_DEP_2)
	v_add_co_u32 v2, vcc_lo, v2, v9
	v_add_co_ci_u32_e32 v2, vcc_lo, v7, v10, vcc_lo
	v_add_co_ci_u32_e32 v7, vcc_lo, 0, v12, vcc_lo
	s_delay_alu instid0(VALU_DEP_2) | instskip(NEXT) | instid1(VALU_DEP_2)
	v_add_co_u32 v2, vcc_lo, v2, v11
	v_add_co_ci_u32_e32 v9, vcc_lo, 0, v7, vcc_lo
	s_delay_alu instid0(VALU_DEP_2) | instskip(SKIP_1) | instid1(VALU_DEP_3)
	v_mul_lo_u32 v10, s21, v2
	v_mad_u64_u32 v[7:8], null, s20, v2, 0
	v_mul_lo_u32 v11, s20, v9
	s_delay_alu instid0(VALU_DEP_2) | instskip(NEXT) | instid1(VALU_DEP_2)
	v_sub_co_u32 v7, vcc_lo, v5, v7
	v_add3_u32 v8, v8, v11, v10
	s_delay_alu instid0(VALU_DEP_1) | instskip(NEXT) | instid1(VALU_DEP_1)
	v_sub_nc_u32_e32 v10, v6, v8
	v_subrev_co_ci_u32_e64 v10, s2, s21, v10, vcc_lo
	v_add_co_u32 v11, s2, v2, 2
	s_delay_alu instid0(VALU_DEP_1) | instskip(SKIP_3) | instid1(VALU_DEP_3)
	v_add_co_ci_u32_e64 v12, s2, 0, v9, s2
	v_sub_co_u32 v13, s2, v7, s20
	v_sub_co_ci_u32_e32 v8, vcc_lo, v6, v8, vcc_lo
	v_subrev_co_ci_u32_e64 v10, s2, 0, v10, s2
	v_cmp_le_u32_e32 vcc_lo, s20, v13
	s_delay_alu instid0(VALU_DEP_3) | instskip(SKIP_1) | instid1(VALU_DEP_4)
	v_cmp_eq_u32_e64 s2, s21, v8
	v_cndmask_b32_e64 v13, 0, -1, vcc_lo
	v_cmp_le_u32_e32 vcc_lo, s21, v10
	v_cndmask_b32_e64 v14, 0, -1, vcc_lo
	v_cmp_le_u32_e32 vcc_lo, s20, v7
	;; [unrolled: 2-line block ×3, first 2 shown]
	v_cndmask_b32_e64 v15, 0, -1, vcc_lo
	v_cmp_eq_u32_e32 vcc_lo, s21, v10
	s_delay_alu instid0(VALU_DEP_2) | instskip(SKIP_3) | instid1(VALU_DEP_3)
	v_cndmask_b32_e64 v7, v15, v7, s2
	v_cndmask_b32_e32 v10, v14, v13, vcc_lo
	v_add_co_u32 v13, vcc_lo, v2, 1
	v_add_co_ci_u32_e32 v14, vcc_lo, 0, v9, vcc_lo
	v_cmp_ne_u32_e32 vcc_lo, 0, v10
	s_delay_alu instid0(VALU_DEP_2) | instskip(NEXT) | instid1(VALU_DEP_4)
	v_cndmask_b32_e32 v8, v14, v12, vcc_lo
	v_cndmask_b32_e32 v10, v13, v11, vcc_lo
	v_cmp_ne_u32_e32 vcc_lo, 0, v7
	s_delay_alu instid0(VALU_DEP_2)
	v_dual_cndmask_b32 v7, v2, v10 :: v_dual_cndmask_b32 v8, v9, v8
.LBB0_4:                                ;   in Loop: Header=BB0_2 Depth=1
	s_and_not1_saveexec_b32 s2, s3
	s_cbranch_execz .LBB0_6
; %bb.5:                                ;   in Loop: Header=BB0_2 Depth=1
	v_cvt_f32_u32_e32 v2, s20
	s_sub_i32 s3, 0, s20
	s_delay_alu instid0(VALU_DEP_1) | instskip(SKIP_2) | instid1(VALU_DEP_1)
	v_rcp_iflag_f32_e32 v2, v2
	s_waitcnt_depctr 0xfff
	v_mul_f32_e32 v2, 0x4f7ffffe, v2
	v_cvt_u32_f32_e32 v2, v2
	s_delay_alu instid0(VALU_DEP_1) | instskip(NEXT) | instid1(VALU_DEP_1)
	v_mul_lo_u32 v7, s3, v2
	v_mul_hi_u32 v7, v2, v7
	s_delay_alu instid0(VALU_DEP_1) | instskip(NEXT) | instid1(VALU_DEP_1)
	v_add_nc_u32_e32 v2, v2, v7
	v_mul_hi_u32 v2, v5, v2
	s_delay_alu instid0(VALU_DEP_1) | instskip(SKIP_1) | instid1(VALU_DEP_2)
	v_mul_lo_u32 v7, v2, s20
	v_add_nc_u32_e32 v8, 1, v2
	v_sub_nc_u32_e32 v7, v5, v7
	s_delay_alu instid0(VALU_DEP_1) | instskip(SKIP_1) | instid1(VALU_DEP_2)
	v_subrev_nc_u32_e32 v9, s20, v7
	v_cmp_le_u32_e32 vcc_lo, s20, v7
	v_dual_cndmask_b32 v7, v7, v9 :: v_dual_cndmask_b32 v2, v2, v8
	s_delay_alu instid0(VALU_DEP_1) | instskip(NEXT) | instid1(VALU_DEP_2)
	v_cmp_le_u32_e32 vcc_lo, s20, v7
	v_add_nc_u32_e32 v8, 1, v2
	s_delay_alu instid0(VALU_DEP_1)
	v_dual_cndmask_b32 v7, v2, v8 :: v_dual_mov_b32 v8, v1
.LBB0_6:                                ;   in Loop: Header=BB0_2 Depth=1
	s_or_b32 exec_lo, exec_lo, s2
	s_load_b64 s[2:3], s[14:15], 0x0
	s_delay_alu instid0(VALU_DEP_1) | instskip(NEXT) | instid1(VALU_DEP_2)
	v_mul_lo_u32 v2, v8, s20
	v_mul_lo_u32 v11, v7, s21
	v_mad_u64_u32 v[9:10], null, v7, s20, 0
	s_add_u32 s18, s18, 1
	s_addc_u32 s19, s19, 0
	s_add_u32 s14, s14, 8
	s_addc_u32 s15, s15, 0
	;; [unrolled: 2-line block ×3, first 2 shown]
	s_delay_alu instid0(VALU_DEP_1) | instskip(SKIP_1) | instid1(VALU_DEP_2)
	v_add3_u32 v2, v10, v11, v2
	v_sub_co_u32 v9, vcc_lo, v5, v9
	v_sub_co_ci_u32_e32 v2, vcc_lo, v6, v2, vcc_lo
	s_waitcnt lgkmcnt(0)
	s_delay_alu instid0(VALU_DEP_2) | instskip(NEXT) | instid1(VALU_DEP_2)
	v_mul_lo_u32 v10, s3, v9
	v_mul_lo_u32 v2, s2, v2
	v_mad_u64_u32 v[5:6], null, s2, v9, v[3:4]
	v_cmp_ge_u64_e64 s2, s[18:19], s[6:7]
	s_delay_alu instid0(VALU_DEP_1) | instskip(NEXT) | instid1(VALU_DEP_2)
	s_and_b32 vcc_lo, exec_lo, s2
	v_add3_u32 v4, v10, v6, v2
	s_delay_alu instid0(VALU_DEP_3)
	v_mov_b32_e32 v3, v5
	s_cbranch_vccnz .LBB0_9
; %bb.7:                                ;   in Loop: Header=BB0_2 Depth=1
	v_dual_mov_b32 v5, v7 :: v_dual_mov_b32 v6, v8
	s_branch .LBB0_2
.LBB0_8:
	v_dual_mov_b32 v8, v6 :: v_dual_mov_b32 v7, v5
.LBB0_9:
	s_lshl_b64 s[2:3], s[6:7], 3
	v_mul_hi_u32 v1, 0x199999a, v0
	s_add_u32 s2, s12, s2
	s_addc_u32 s3, s13, s3
	s_load_b64 s[0:1], s[0:1], 0x20
	s_load_b64 s[2:3], s[2:3], 0x0
                                        ; implicit-def: $vgpr9
                                        ; implicit-def: $vgpr12
                                        ; implicit-def: $vgpr10
                                        ; implicit-def: $vgpr14
	s_delay_alu instid0(VALU_DEP_1) | instskip(NEXT) | instid1(VALU_DEP_1)
	v_mul_u32_u24_e32 v1, 0xa0, v1
	v_sub_nc_u32_e32 v0, v0, v1
	s_delay_alu instid0(VALU_DEP_1)
	v_add_nc_u32_e32 v64, 0xa0, v0
	v_add_nc_u32_e32 v63, 0x140, v0
	;; [unrolled: 1-line block ×4, first 2 shown]
	v_or_b32_e32 v55, 0x500, v0
	s_waitcnt lgkmcnt(0)
	v_cmp_gt_u64_e32 vcc_lo, s[0:1], v[7:8]
	v_mul_lo_u32 v5, s2, v8
	v_mul_lo_u32 v6, s3, v7
	v_mad_u64_u32 v[1:2], null, s2, v7, v[3:4]
	v_cmp_le_u64_e64 s0, s[0:1], v[7:8]
	v_add_nc_u32_e32 v62, 0x320, v0
	v_add_nc_u32_e32 v65, 0x1e0, v0
	;; [unrolled: 1-line block ×4, first 2 shown]
                                        ; implicit-def: $vgpr4
                                        ; implicit-def: $vgpr7
                                        ; implicit-def: $vgpr8
	v_add3_u32 v2, v6, v2, v5
                                        ; implicit-def: $vgpr5
                                        ; implicit-def: $vgpr6
	s_and_saveexec_b32 s1, s0
	s_delay_alu instid0(SALU_CYCLE_1)
	s_xor_b32 s0, exec_lo, s1
; %bb.10:
	v_add_nc_u32_e32 v4, 0xa0, v0
	v_add_nc_u32_e32 v5, 0x140, v0
	;; [unrolled: 1-line block ×4, first 2 shown]
	v_or_b32_e32 v12, 0x500, v0
	v_add_nc_u32_e32 v8, 0x320, v0
	v_add_nc_u32_e32 v6, 0x1e0, v0
	;; [unrolled: 1-line block ×4, first 2 shown]
; %bb.11:
	s_or_saveexec_b32 s1, s0
	v_lshlrev_b64 v[2:3], 3, v[1:2]
	v_add_nc_u32_e32 v69, 0x640, v0
	v_add_nc_u32_e32 v67, 0x780, v0
	;; [unrolled: 1-line block ×7, first 2 shown]
                                        ; implicit-def: $vgpr20
                                        ; implicit-def: $vgpr22
                                        ; implicit-def: $vgpr46
                                        ; implicit-def: $vgpr50
                                        ; implicit-def: $vgpr34
                                        ; implicit-def: $vgpr52
                                        ; implicit-def: $vgpr54
                                        ; implicit-def: $vgpr48
                                        ; implicit-def: $vgpr16
                                        ; implicit-def: $vgpr38
                                        ; implicit-def: $vgpr28
                                        ; implicit-def: $vgpr40
                                        ; implicit-def: $vgpr42
                                        ; implicit-def: $vgpr26
                                        ; implicit-def: $vgpr44
                                        ; implicit-def: $vgpr24
                                        ; implicit-def: $vgpr30
                                        ; implicit-def: $vgpr18
                                        ; implicit-def: $vgpr36
                                        ; implicit-def: $vgpr32
	s_xor_b32 exec_lo, exec_lo, s1
	s_cbranch_execz .LBB0_13
; %bb.12:
	v_mad_u64_u32 v[4:5], null, s8, v0, 0
	v_mad_u64_u32 v[6:7], null, s8, v63, 0
	;; [unrolled: 1-line block ×4, first 2 shown]
	s_delay_alu instid0(VALU_DEP_4) | instskip(SKIP_3) | instid1(VALU_DEP_4)
	v_mov_b32_e32 v1, v5
	v_mad_u64_u32 v[10:11], null, s8, v61, 0
	v_mov_b32_e32 v5, v7
	v_add_co_u32 v39, s0, s10, v2
	v_mad_u64_u32 v[12:13], null, s9, v0, v[1:2]
	s_delay_alu instid0(VALU_DEP_3) | instskip(SKIP_4) | instid1(VALU_DEP_4)
	v_mad_u64_u32 v[13:14], null, s9, v63, v[5:6]
	v_mov_b32_e32 v1, v9
	v_mov_b32_e32 v9, v11
	v_add_co_ci_u32_e64 v40, s0, s11, v3, s0
	v_mov_b32_e32 v5, v12
	v_mad_u64_u32 v[11:12], null, s9, v60, v[1:2]
	v_mov_b32_e32 v7, v13
	v_mad_u64_u32 v[12:13], null, s9, v61, v[9:10]
	v_mad_u64_u32 v[13:14], null, s8, v55, 0
	v_lshlrev_b64 v[4:5], 3, v[4:5]
	v_mov_b32_e32 v9, v11
	v_lshlrev_b64 v[6:7], 3, v[6:7]
	v_add_nc_u32_e32 v41, 0xbe0, v0
	v_dual_mov_b32 v11, v12 :: v_dual_mov_b32 v12, v18
	v_mov_b32_e32 v1, v14
	v_add_co_u32 v4, s0, v39, v4
	v_lshlrev_b64 v[8:9], 3, v[8:9]
	v_add_co_ci_u32_e64 v5, s0, v40, v5, s0
	s_delay_alu instid0(VALU_DEP_4)
	v_mad_u64_u32 v[14:15], null, s9, v55, v[1:2]
	v_mad_u64_u32 v[15:16], null, s8, v69, 0
	v_add_nc_u32_e32 v30, 0x960, v0
	v_add_co_u32 v6, s0, v39, v6
	v_lshlrev_b64 v[10:11], 3, v[10:11]
	v_lshlrev_b64 v[13:14], 3, v[13:14]
	v_add_co_ci_u32_e64 v7, s0, v40, v7, s0
	v_mov_b32_e32 v1, v16
	v_add_co_u32 v8, s0, v39, v8
	s_delay_alu instid0(VALU_DEP_4) | instskip(NEXT) | instid1(VALU_DEP_3)
	v_mad_u64_u32 v[23:24], null, s9, v67, v[12:13]
	v_mad_u64_u32 v[18:19], null, s9, v69, v[1:2]
	;; [unrolled: 1-line block ×3, first 2 shown]
	v_add_co_ci_u32_e64 v9, s0, v40, v9, s0
	v_add_co_u32 v10, s0, v39, v10
	s_delay_alu instid0(VALU_DEP_4)
	v_mov_b32_e32 v16, v18
	v_mov_b32_e32 v18, v23
	v_or_b32_e32 v23, 0xa00, v0
	v_add_co_ci_u32_e64 v11, s0, v40, v11, s0
	v_mov_b32_e32 v1, v25
	s_clause 0x3
	global_load_b64 v[19:20], v[4:5], off
	global_load_b64 v[21:22], v[6:7], off
	;; [unrolled: 1-line block ×4, first 2 shown]
	v_mad_u64_u32 v[11:12], null, s8, v23, 0
	v_add_co_u32 v4, s0, v39, v13
	v_mad_u64_u32 v[8:9], null, s9, v66, v[1:2]
	v_add_co_ci_u32_e64 v5, s0, v40, v14, s0
	s_delay_alu instid0(VALU_DEP_4)
	v_mov_b32_e32 v1, v12
	v_lshlrev_b64 v[6:7], 3, v[15:16]
	v_mad_u64_u32 v[14:15], null, s8, v57, 0
	v_mov_b32_e32 v25, v8
	v_lshlrev_b64 v[9:10], 3, v[17:18]
	v_mad_u64_u32 v[16:17], null, s9, v23, v[1:2]
	v_mad_u64_u32 v[17:18], null, s8, v64, 0
	v_add_co_u32 v6, s0, v39, v6
	v_lshlrev_b64 v[12:13], 3, v[24:25]
	v_mov_b32_e32 v1, v15
	v_add_co_ci_u32_e64 v7, s0, v40, v7, s0
	v_add_co_u32 v8, s0, v39, v9
	v_mad_u64_u32 v[25:26], null, s8, v65, 0
	v_add_co_ci_u32_e64 v9, s0, v40, v10, s0
	v_add_co_u32 v23, s0, v39, v12
	v_mov_b32_e32 v12, v16
	v_mad_u64_u32 v[15:16], null, s9, v57, v[1:2]
	v_mov_b32_e32 v1, v18
	v_add_co_ci_u32_e64 v24, s0, v40, v13, s0
	s_clause 0x3
	global_load_b64 v[49:50], v[4:5], off
	global_load_b64 v[33:34], v[6:7], off
	;; [unrolled: 1-line block ×4, first 2 shown]
	v_lshlrev_b64 v[5:6], 3, v[11:12]
	v_mad_u64_u32 v[7:8], null, s9, v64, v[1:2]
	v_mov_b32_e32 v4, v26
	v_mad_u64_u32 v[23:24], null, s8, v59, 0
	s_delay_alu instid0(VALU_DEP_2) | instskip(SKIP_1) | instid1(VALU_DEP_1)
	v_mad_u64_u32 v[8:9], null, s9, v65, v[4:5]
	v_add_co_u32 v4, s0, v39, v5
	v_add_co_ci_u32_e64 v5, s0, v40, v6, s0
	v_mov_b32_e32 v18, v7
	v_mad_u64_u32 v[6:7], null, s8, v62, 0
	v_lshlrev_b64 v[9:10], 3, v[14:15]
	s_delay_alu instid0(VALU_DEP_2) | instskip(NEXT) | instid1(VALU_DEP_2)
	v_dual_mov_b32 v26, v8 :: v_dual_mov_b32 v1, v7
	v_add_co_u32 v8, s0, v39, v9
	s_delay_alu instid0(VALU_DEP_1) | instskip(SKIP_1) | instid1(VALU_DEP_4)
	v_add_co_ci_u32_e64 v9, s0, v40, v10, s0
	v_lshlrev_b64 v[10:11], 3, v[17:18]
	v_mad_u64_u32 v[14:15], null, s9, v62, v[1:2]
	v_lshlrev_b64 v[12:13], 3, v[25:26]
	v_mad_u64_u32 v[25:26], null, s8, v56, 0
	s_delay_alu instid0(VALU_DEP_4) | instskip(SKIP_4) | instid1(VALU_DEP_1)
	v_add_co_u32 v10, s0, v39, v10
	v_mov_b32_e32 v1, v24
	v_add_co_ci_u32_e64 v11, s0, v40, v11, s0
	v_mov_b32_e32 v7, v14
	v_add_co_u32 v12, s0, v39, v12
	v_add_co_ci_u32_e64 v13, s0, v40, v13, s0
	v_mad_u64_u32 v[27:28], null, s9, v59, v[1:2]
	v_mov_b32_e32 v1, v26
	s_clause 0x3
	global_load_b64 v[53:54], v[4:5], off
	global_load_b64 v[47:48], v[8:9], off
	;; [unrolled: 1-line block ×4, first 2 shown]
	v_lshlrev_b64 v[4:5], 3, v[6:7]
	v_mad_u64_u32 v[6:7], null, s8, v70, 0
	v_mad_u64_u32 v[8:9], null, s9, v56, v[1:2]
	;; [unrolled: 1-line block ×4, first 2 shown]
	s_delay_alu instid0(VALU_DEP_4) | instskip(SKIP_3) | instid1(VALU_DEP_4)
	v_mov_b32_e32 v1, v7
	v_mov_b32_e32 v24, v27
	;; [unrolled: 1-line block ×3, first 2 shown]
	v_add_co_u32 v4, s0, v39, v4
	v_mad_u64_u32 v[7:8], null, s9, v70, v[1:2]
	v_mov_b32_e32 v1, v10
	v_lshlrev_b64 v[11:12], 3, v[23:24]
	v_lshlrev_b64 v[23:24], 3, v[25:26]
	v_add_co_ci_u32_e64 v5, s0, v40, v5, s0
	s_delay_alu instid0(VALU_DEP_4) | instskip(SKIP_3) | instid1(VALU_DEP_3)
	v_mad_u64_u32 v[25:26], null, s9, v68, v[1:2]
	v_mov_b32_e32 v1, v14
	v_mad_u64_u32 v[26:27], null, s8, v58, 0
	v_add_co_u32 v11, s0, v39, v11
	v_mad_u64_u32 v[28:29], null, s9, v30, v[1:2]
	v_mad_u64_u32 v[29:30], null, s8, v41, 0
	s_delay_alu instid0(VALU_DEP_4) | instskip(SKIP_3) | instid1(VALU_DEP_4)
	v_dual_mov_b32 v1, v27 :: v_dual_mov_b32 v10, v25
	v_lshlrev_b64 v[6:7], 3, v[6:7]
	v_add_co_ci_u32_e64 v12, s0, v40, v12, s0
	v_mov_b32_e32 v14, v28
	v_mad_u64_u32 v[27:28], null, s9, v58, v[1:2]
	v_mov_b32_e32 v1, v30
	v_add_co_u32 v23, s0, v39, v23
	v_lshlrev_b64 v[8:9], 3, v[9:10]
	v_add_co_ci_u32_e64 v24, s0, v40, v24, s0
	s_delay_alu instid0(VALU_DEP_4)
	v_mad_u64_u32 v[37:38], null, s9, v41, v[1:2]
	v_add_co_u32 v6, s0, v39, v6
	v_lshlrev_b64 v[13:14], 3, v[13:14]
	v_add_co_ci_u32_e64 v7, s0, v40, v7, s0
	v_add_co_u32 v8, s0, v39, v8
	v_mov_b32_e32 v30, v37
	v_lshlrev_b64 v[25:26], 3, v[26:27]
	v_add_co_ci_u32_e64 v9, s0, v40, v9, s0
	v_add_co_u32 v13, s0, v39, v13
	s_delay_alu instid0(VALU_DEP_4) | instskip(SKIP_2) | instid1(VALU_DEP_1)
	v_lshlrev_b64 v[27:28], 3, v[29:30]
	v_add_co_ci_u32_e64 v14, s0, v40, v14, s0
	v_add_co_u32 v43, s0, v39, v25
	v_add_co_ci_u32_e64 v44, s0, v40, v26, s0
	s_delay_alu instid0(VALU_DEP_4) | instskip(NEXT) | instid1(VALU_DEP_1)
	v_add_co_u32 v71, s0, v39, v27
	v_add_co_ci_u32_e64 v72, s0, v40, v28, s0
	s_clause 0x7
	global_load_b64 v[37:38], v[4:5], off
	global_load_b64 v[27:28], v[11:12], off
	;; [unrolled: 1-line block ×8, first 2 shown]
	v_mov_b32_e32 v4, v64
	v_mov_b32_e32 v14, v56
	;; [unrolled: 1-line block ×5, first 2 shown]
	v_dual_mov_b32 v12, v55 :: v_dual_mov_b32 v9, v61
	v_mov_b32_e32 v7, v60
	v_mov_b32_e32 v5, v63
.LBB0_13:
	s_or_b32 exec_lo, exec_lo, s1
	s_waitcnt vmcnt(11)
	v_dual_sub_f32 v13, v46, v54 :: v_dual_sub_f32 v72, v45, v49
	v_dual_sub_f32 v71, v50, v52 :: v_dual_add_f32 v74, v45, v53
	v_sub_f32_e32 v73, v53, v51
	v_dual_add_f32 v1, v49, v51 :: v_dual_add_f32 v78, v50, v52
	v_cmp_gt_u32_e64 s0, 0x64, v0
	s_delay_alu instid0(VALU_DEP_3) | instskip(NEXT) | instid1(VALU_DEP_3)
	v_add_f32_e32 v72, v72, v73
	v_fma_f32 v1, -0.5, v1, v19
	v_add_f32_e32 v11, v19, v45
	v_fmac_f32_e32 v19, -0.5, v74
	s_delay_alu instid0(VALU_DEP_2) | instskip(SKIP_1) | instid1(VALU_DEP_3)
	v_dual_fmamk_f32 v76, v13, 0x3f737871, v1 :: v_dual_add_f32 v11, v11, v49
	v_fmac_f32_e32 v1, 0xbf737871, v13
	v_fmamk_f32 v74, v71, 0xbf737871, v19
	s_delay_alu instid0(VALU_DEP_3) | instskip(NEXT) | instid1(VALU_DEP_4)
	v_fmac_f32_e32 v76, 0x3f167918, v71
	v_add_f32_e32 v11, v11, v51
	v_sub_f32_e32 v75, v49, v45
	s_delay_alu instid0(VALU_DEP_4)
	v_fmac_f32_e32 v74, 0x3f167918, v13
	v_sub_f32_e32 v45, v45, v53
	v_sub_f32_e32 v49, v49, v51
	;; [unrolled: 1-line block ×3, first 2 shown]
	v_add_f32_e32 v11, v11, v53
	v_add_f32_e32 v53, v46, v54
	v_fmac_f32_e32 v1, 0xbf167918, v71
	s_delay_alu instid0(VALU_DEP_4)
	v_dual_fmac_f32 v76, 0x3e9e377a, v72 :: v_dual_add_f32 v73, v75, v73
	v_add_f32_e32 v77, v20, v46
	v_fma_f32 v75, -0.5, v78, v20
	v_dual_sub_f32 v51, v46, v50 :: v_dual_fmac_f32 v20, -0.5, v53
	v_fmac_f32_e32 v1, 0x3e9e377a, v72
	v_sub_f32_e32 v72, v54, v52
	v_fmac_f32_e32 v74, 0x3e9e377a, v73
	v_dual_sub_f32 v46, v50, v46 :: v_dual_fmac_f32 v19, 0x3f737871, v71
	v_sub_f32_e32 v53, v31, v33
	s_delay_alu instid0(VALU_DEP_4) | instskip(SKIP_2) | instid1(VALU_DEP_3)
	v_dual_add_f32 v51, v51, v72 :: v_dual_fmamk_f32 v72, v49, 0x3f737871, v20
	v_add_f32_e32 v71, v77, v50
	v_sub_f32_e32 v50, v52, v54
	v_fmac_f32_e32 v72, 0xbf167918, v45
	s_delay_alu instid0(VALU_DEP_2) | instskip(NEXT) | instid1(VALU_DEP_1)
	v_dual_add_f32 v46, v46, v50 :: v_dual_fmac_f32 v19, 0xbf167918, v13
	v_dual_fmac_f32 v72, 0x3e9e377a, v46 :: v_dual_add_f32 v13, v71, v52
	v_fmac_f32_e32 v20, 0xbf737871, v49
	v_add_f32_e32 v52, v33, v35
	s_delay_alu instid0(VALU_DEP_1) | instskip(SKIP_4) | instid1(VALU_DEP_3)
	v_fma_f32 v50, -0.5, v52, v21
	s_waitcnt vmcnt(10)
	v_dual_sub_f32 v52, v32, v48 :: v_dual_fmamk_f32 v71, v45, 0xbf737871, v75
	v_fmac_f32_e32 v75, 0x3f737871, v45
	v_fmac_f32_e32 v20, 0x3f167918, v45
	;; [unrolled: 1-line block ×3, first 2 shown]
	s_delay_alu instid0(VALU_DEP_3) | instskip(NEXT) | instid1(VALU_DEP_3)
	v_fmac_f32_e32 v75, 0x3f167918, v49
	v_dual_add_f32 v49, v21, v31 :: v_dual_fmac_f32 v20, 0x3e9e377a, v46
	v_sub_f32_e32 v46, v33, v31
	s_delay_alu instid0(VALU_DEP_4) | instskip(NEXT) | instid1(VALU_DEP_4)
	v_fmac_f32_e32 v71, 0x3e9e377a, v51
	v_fmac_f32_e32 v75, 0x3e9e377a, v51
	s_delay_alu instid0(VALU_DEP_4)
	v_add_f32_e32 v45, v33, v49
	v_fmamk_f32 v49, v52, 0x3f737871, v50
	v_sub_f32_e32 v51, v34, v36
	v_dual_fmac_f32 v50, 0xbf737871, v52 :: v_dual_add_f32 v13, v13, v54
	v_dual_sub_f32 v54, v47, v35 :: v_dual_fmac_f32 v19, 0x3e9e377a, v73
	v_add_f32_e32 v45, v35, v45
	v_sub_f32_e32 v33, v33, v35
	v_add_f32_e32 v73, v47, v31
	v_fmac_f32_e32 v49, 0x3f167918, v51
	v_dual_add_f32 v53, v54, v53 :: v_dual_fmac_f32 v50, 0xbf167918, v51
	v_add_f32_e32 v54, v47, v45
	s_delay_alu instid0(VALU_DEP_4) | instskip(SKIP_1) | instid1(VALU_DEP_4)
	v_fmac_f32_e32 v21, -0.5, v73
	v_add_f32_e32 v45, v34, v36
	v_fmac_f32_e32 v49, 0x3e9e377a, v53
	v_dual_fmac_f32 v50, 0x3e9e377a, v53 :: v_dual_sub_f32 v31, v31, v47
	s_delay_alu instid0(VALU_DEP_4) | instskip(SKIP_2) | instid1(VALU_DEP_3)
	v_fmamk_f32 v53, v51, 0xbf737871, v21
	v_fmac_f32_e32 v21, 0x3f737871, v51
	v_fma_f32 v51, -0.5, v45, v22
	v_fmac_f32_e32 v53, 0x3f167918, v52
	s_delay_alu instid0(VALU_DEP_3) | instskip(NEXT) | instid1(VALU_DEP_3)
	v_fmac_f32_e32 v21, 0xbf167918, v52
	v_fmamk_f32 v52, v31, 0xbf737871, v51
	s_delay_alu instid0(VALU_DEP_1) | instskip(NEXT) | instid1(VALU_DEP_1)
	v_dual_fmac_f32 v52, 0xbf167918, v33 :: v_dual_sub_f32 v73, v35, v47
	v_dual_add_f32 v45, v73, v46 :: v_dual_add_f32 v46, v22, v32
	s_delay_alu instid0(VALU_DEP_1) | instskip(NEXT) | instid1(VALU_DEP_2)
	v_fmac_f32_e32 v53, 0x3e9e377a, v45
	v_dual_add_f32 v35, v34, v46 :: v_dual_sub_f32 v46, v48, v36
	s_delay_alu instid0(VALU_DEP_2) | instskip(SKIP_3) | instid1(VALU_DEP_2)
	v_dual_mul_f32 v80, 0xbf737871, v53 :: v_dual_add_f32 v47, v48, v32
	v_fmac_f32_e32 v21, 0x3e9e377a, v45
	v_dual_sub_f32 v45, v32, v34 :: v_dual_sub_f32 v32, v34, v32
	v_sub_f32_e32 v34, v36, v48
	v_dual_fmac_f32 v22, -0.5, v47 :: v_dual_add_f32 v45, v46, v45
	s_delay_alu instid0(VALU_DEP_1) | instskip(SKIP_1) | instid1(VALU_DEP_3)
	v_dual_add_f32 v32, v34, v32 :: v_dual_fmamk_f32 v73, v33, 0x3f737871, v22
	v_fmac_f32_e32 v22, 0xbf737871, v33
	v_fmac_f32_e32 v52, 0x3e9e377a, v45
	s_delay_alu instid0(VALU_DEP_3) | instskip(NEXT) | instid1(VALU_DEP_3)
	v_fmac_f32_e32 v73, 0xbf167918, v31
	v_fmac_f32_e32 v22, 0x3f167918, v31
	s_delay_alu instid0(VALU_DEP_3) | instskip(NEXT) | instid1(VALU_DEP_3)
	v_mul_f32_e32 v34, 0x3f167918, v52
	v_fmac_f32_e32 v73, 0x3e9e377a, v32
	s_delay_alu instid0(VALU_DEP_3) | instskip(SKIP_1) | instid1(VALU_DEP_1)
	v_fmac_f32_e32 v22, 0x3e9e377a, v32
	v_mul_f32_e32 v32, 0x3e9e377a, v21
	v_fma_f32 v77, 0x3f737871, v22, -v32
	v_mul_f32_e32 v22, 0x3e9e377a, v22
	v_fmac_f32_e32 v34, 0x3f4f1bbd, v49
	v_fmac_f32_e32 v51, 0x3f737871, v31
	v_add_f32_e32 v31, v36, v35
	v_mul_f32_e32 v35, 0x3e9e377a, v53
	s_delay_alu instid0(VALU_DEP_4) | instskip(NEXT) | instid1(VALU_DEP_3)
	v_dual_mul_f32 v79, 0xbf167918, v49 :: v_dual_add_f32 v46, v76, v34
	v_dual_sub_f32 v53, v19, v77 :: v_dual_add_f32 v36, v48, v31
	s_delay_alu instid0(VALU_DEP_3) | instskip(NEXT) | instid1(VALU_DEP_3)
	v_fmac_f32_e32 v35, 0x3f737871, v73
	v_fmac_f32_e32 v79, 0x3f4f1bbd, v52
	v_dual_mul_f32 v31, 0x3f4f1bbd, v50 :: v_dual_add_f32 v48, v19, v77
	s_waitcnt vmcnt(1)
	v_add_f32_e32 v77, v37, v43
	v_add_f32_e32 v47, v74, v35
	v_sub_f32_e32 v52, v74, v35
	v_dual_sub_f32 v74, v38, v44 :: v_dual_fmac_f32 v51, 0x3f167918, v33
	s_delay_alu instid0(VALU_DEP_1) | instskip(SKIP_1) | instid1(VALU_DEP_2)
	v_fmac_f32_e32 v51, 0x3e9e377a, v45
	v_add_f32_e32 v45, v11, v54
	v_fma_f32 v78, 0x3f167918, v51, -v31
	v_mul_f32_e32 v31, 0x3f4f1bbd, v51
	v_dual_sub_f32 v51, v76, v34 :: v_dual_sub_f32 v34, v13, v36
	s_delay_alu instid0(VALU_DEP_3) | instskip(NEXT) | instid1(VALU_DEP_3)
	v_dual_sub_f32 v76, v43, v41 :: v_dual_add_f32 v49, v1, v78
	v_fma_f32 v81, 0xbf167918, v50, -v31
	v_sub_f32_e32 v50, v11, v54
	v_dual_add_f32 v11, v39, v41 :: v_dual_sub_f32 v54, v1, v78
	v_add_f32_e32 v78, v40, v42
	v_fmac_f32_e32 v80, 0x3e9e377a, v73
	v_fma_f32 v73, 0xbf737871, v21, -v22
	s_delay_alu instid0(VALU_DEP_4) | instskip(SKIP_1) | instid1(VALU_DEP_4)
	v_fma_f32 v11, -0.5, v11, v15
	v_dual_add_f32 v21, v13, v36 :: v_dual_add_f32 v22, v71, v79
	v_add_f32_e32 v31, v72, v80
	s_delay_alu instid0(VALU_DEP_4)
	v_add_f32_e32 v32, v20, v73
	v_add_f32_e32 v33, v75, v81
	v_dual_add_f32 v1, v15, v37 :: v_dual_sub_f32 v36, v72, v80
	v_dual_fmamk_f32 v13, v74, 0x3f737871, v11 :: v_dual_sub_f32 v72, v37, v39
	v_sub_f32_e32 v19, v20, v73
	v_sub_f32_e32 v20, v75, v81
	;; [unrolled: 1-line block ×6, first 2 shown]
	v_dual_add_f32 v72, v72, v76 :: v_dual_fmac_f32 v15, -0.5, v77
	v_dual_fmac_f32 v11, 0xbf737871, v74 :: v_dual_sub_f32 v76, v41, v43
	s_delay_alu instid0(VALU_DEP_3) | instskip(SKIP_1) | instid1(VALU_DEP_4)
	v_fmac_f32_e32 v13, 0x3f167918, v71
	v_add_f32_e32 v1, v1, v39
	v_fmamk_f32 v73, v71, 0xbf737871, v15
	s_delay_alu instid0(VALU_DEP_4)
	v_fmac_f32_e32 v11, 0xbf167918, v71
	v_add_f32_e32 v75, v75, v76
	v_fmac_f32_e32 v13, 0x3e9e377a, v72
	v_fmac_f32_e32 v15, 0x3f737871, v71
	v_add_f32_e32 v1, v1, v41
	v_add_f32_e32 v77, v16, v38
	v_fmac_f32_e32 v73, 0x3f167918, v74
	v_fma_f32 v76, -0.5, v78, v16
	v_fmac_f32_e32 v15, 0xbf167918, v74
	v_add_f32_e32 v1, v1, v43
	v_sub_f32_e32 v39, v39, v41
	v_dual_sub_f32 v41, v38, v40 :: v_dual_sub_f32 v74, v44, v42
	s_delay_alu instid0(VALU_DEP_4)
	v_fmac_f32_e32 v15, 0x3e9e377a, v75
	v_fmac_f32_e32 v11, 0x3e9e377a, v72
	v_add_f32_e32 v72, v38, v44
	v_add_f32_e32 v71, v77, v40
	;; [unrolled: 1-line block ×3, first 2 shown]
	v_sub_f32_e32 v38, v40, v38
	v_sub_f32_e32 v40, v42, v44
	s_delay_alu instid0(VALU_DEP_4) | instskip(SKIP_1) | instid1(VALU_DEP_3)
	v_dual_fmac_f32 v16, -0.5, v72 :: v_dual_add_f32 v43, v71, v42
	v_dual_add_f32 v42, v25, v29 :: v_dual_fmac_f32 v73, 0x3e9e377a, v75
	v_add_f32_e32 v38, v38, v40
	s_delay_alu instid0(VALU_DEP_3) | instskip(SKIP_1) | instid1(VALU_DEP_4)
	v_fmamk_f32 v74, v39, 0x3f737871, v16
	v_fmac_f32_e32 v16, 0xbf737871, v39
	v_fma_f32 v40, -0.5, v42, v17
	s_waitcnt vmcnt(0)
	v_sub_f32_e32 v42, v28, v24
	v_add_f32_e32 v72, v43, v44
	v_fmac_f32_e32 v74, 0xbf167918, v37
	v_fmac_f32_e32 v16, 0x3f167918, v37
	v_sub_f32_e32 v43, v27, v29
	v_sub_f32_e32 v44, v23, v25
	s_delay_alu instid0(VALU_DEP_4) | instskip(NEXT) | instid1(VALU_DEP_4)
	v_fmac_f32_e32 v74, 0x3e9e377a, v38
	v_fmac_f32_e32 v16, 0x3e9e377a, v38
	v_fmamk_f32 v71, v37, 0xbf737871, v76
	v_dual_fmac_f32 v76, 0x3f737871, v37 :: v_dual_add_f32 v75, v27, v23
	v_add_f32_e32 v43, v44, v43
	v_sub_f32_e32 v44, v29, v27
	s_delay_alu instid0(VALU_DEP_4) | instskip(NEXT) | instid1(VALU_DEP_4)
	v_fmac_f32_e32 v71, 0xbf167918, v39
	v_fmac_f32_e32 v76, 0x3f167918, v39
	s_delay_alu instid0(VALU_DEP_2) | instskip(NEXT) | instid1(VALU_DEP_2)
	v_fmac_f32_e32 v71, 0x3e9e377a, v41
	v_fmac_f32_e32 v76, 0x3e9e377a, v41
	v_add_f32_e32 v39, v27, v17
	v_sub_f32_e32 v41, v30, v26
	v_fmac_f32_e32 v17, -0.5, v75
	v_sub_f32_e32 v75, v25, v23
	s_delay_alu instid0(VALU_DEP_4)
	v_add_f32_e32 v37, v29, v39
	v_fmamk_f32 v39, v42, 0x3f737871, v40
	v_fmac_f32_e32 v40, 0xbf737871, v42
	v_fmamk_f32 v38, v41, 0xbf737871, v17
	v_fmac_f32_e32 v17, 0x3f737871, v41
	v_add_f32_e32 v37, v25, v37
	v_fmac_f32_e32 v39, 0x3f167918, v41
	v_fmac_f32_e32 v40, 0xbf167918, v41
	;; [unrolled: 1-line block ×4, first 2 shown]
	v_add_f32_e32 v37, v23, v37
	v_fmac_f32_e32 v39, 0x3e9e377a, v43
	v_dual_fmac_f32 v40, 0x3e9e377a, v43 :: v_dual_add_f32 v43, v26, v30
	v_sub_f32_e32 v23, v27, v23
	v_dual_add_f32 v27, v75, v44 :: v_dual_add_f32 v42, v28, v18
	v_sub_f32_e32 v25, v29, v25
	s_delay_alu instid0(VALU_DEP_4) | instskip(NEXT) | instid1(VALU_DEP_3)
	v_fma_f32 v41, -0.5, v43, v18
	v_dual_add_f32 v43, v28, v24 :: v_dual_fmac_f32 v38, 0x3e9e377a, v27
	v_fmac_f32_e32 v17, 0x3e9e377a, v27
	s_delay_alu instid0(VALU_DEP_3) | instskip(NEXT) | instid1(VALU_DEP_3)
	v_dual_add_f32 v27, v30, v42 :: v_dual_fmamk_f32 v44, v23, 0xbf737871, v41
	v_dual_fmac_f32 v18, -0.5, v43 :: v_dual_sub_f32 v29, v28, v30
	v_dual_sub_f32 v42, v24, v26 :: v_dual_fmac_f32 v41, 0x3f737871, v23
	s_delay_alu instid0(VALU_DEP_2) | instskip(SKIP_2) | instid1(VALU_DEP_4)
	v_dual_sub_f32 v28, v30, v28 :: v_dual_fmamk_f32 v43, v25, 0x3f737871, v18
	v_sub_f32_e32 v30, v26, v24
	v_fmac_f32_e32 v18, 0xbf737871, v25
	v_add_f32_e32 v29, v42, v29
	v_fmac_f32_e32 v41, 0x3f167918, v25
	s_delay_alu instid0(VALU_DEP_4) | instskip(NEXT) | instid1(VALU_DEP_4)
	v_dual_fmac_f32 v43, 0xbf167918, v23 :: v_dual_add_f32 v28, v30, v28
	v_fmac_f32_e32 v18, 0x3f167918, v23
	v_fmac_f32_e32 v44, 0xbf167918, v25
	s_delay_alu instid0(VALU_DEP_4) | instskip(SKIP_3) | instid1(VALU_DEP_4)
	v_fmac_f32_e32 v41, 0x3e9e377a, v29
	v_add_f32_e32 v23, v26, v27
	v_fmac_f32_e32 v43, 0x3e9e377a, v28
	v_dual_fmac_f32 v18, 0x3e9e377a, v28 :: v_dual_mul_f32 v75, 0x3e9e377a, v38
	v_mul_f32_e32 v28, 0x3f4f1bbd, v41
	v_fmac_f32_e32 v44, 0x3e9e377a, v29
	v_mul_f32_e32 v25, 0x3e9e377a, v17
	v_add_f32_e32 v77, v24, v23
	v_fmac_f32_e32 v75, 0x3f737871, v43
	v_mul_f32_e32 v27, 0x3f4f1bbd, v40
	v_dual_add_f32 v23, v1, v37 :: v_dual_mul_f32 v80, 0xbf167918, v39
	v_fma_f32 v83, 0xbf167918, v40, -v28
	v_sub_f32_e32 v28, v1, v37
	v_mul_u32_u24_e32 v1, 10, v0
	v_mul_f32_e32 v42, 0x3f4f1bbd, v39
	v_fma_f32 v78, 0x3f737871, v18, -v25
	v_fma_f32 v79, 0x3f167918, v41, -v27
	v_dual_mul_f32 v18, 0x3e9e377a, v18 :: v_dual_add_f32 v25, v73, v75
	v_dual_fmac_f32 v80, 0x3f4f1bbd, v44 :: v_dual_sub_f32 v39, v73, v75
	v_lshl_add_u32 v75, v1, 2, 0
	v_and_b32_e32 v1, 0xffff, v4
	s_delay_alu instid0(VALU_DEP_4) | instskip(NEXT) | instid1(VALU_DEP_4)
	v_fma_f32 v82, 0xbf737871, v17, -v18
	v_add_f32_e32 v18, v71, v80
	v_add_f32_e32 v26, v15, v78
	;; [unrolled: 1-line block ×3, first 2 shown]
	v_sub_f32_e32 v41, v11, v79
	v_mul_i32_i24_e32 v11, 10, v4
	v_mul_u32_u24_e32 v1, 0xcccd, v1
	v_fmac_f32_e32 v42, 0x3f167918, v44
	v_mul_f32_e32 v81, 0xbf737871, v38
	v_add_f32_e32 v30, v16, v82
	v_lshl_add_u32 v37, v11, 2, 0
	v_lshrrev_b32_e32 v11, 19, v1
	v_add_f32_e32 v24, v13, v42
	v_sub_f32_e32 v38, v13, v42
	v_dual_sub_f32 v73, v16, v82 :: v_dual_and_b32 v16, 0xff, v0
	s_delay_alu instid0(VALU_DEP_4)
	v_mul_lo_u16 v13, v11, 10
	v_sub_f32_e32 v40, v15, v78
	ds_store_2addr_b64 v75, v[45:46], v[47:48] offset1:1
	ds_store_2addr_b64 v75, v[49:50], v[51:52] offset0:2 offset1:3
	ds_store_b64 v75, v[53:54] offset:32
	ds_store_2addr_b64 v37, v[23:24], v[25:26] offset1:1
	ds_store_2addr_b64 v37, v[27:28], v[38:39] offset0:2 offset1:3
	ds_store_b64 v37, v[40:41] offset:32
	v_mad_i32_i24 v38, 0xffffffdc, v0, v75
	v_mul_lo_u16 v16, 0xcd, v16
	v_sub_nc_u16 v13, v4, v13
	v_fmac_f32_e32 v81, 0x3e9e377a, v43
	v_add_f32_e32 v17, v72, v77
	v_add_nc_u32_e32 v99, 0x1800, v38
	v_add_nc_u32_e32 v101, 0x1e00, v38
	v_and_b32_e32 v13, 0xffff, v13
	v_add_nc_u32_e32 v104, 0x2800, v38
	v_lshrrev_b16 v16, 11, v16
	v_add_f32_e32 v29, v74, v81
	v_lshl_add_u32 v39, v5, 2, 0
	v_add_nc_u32_e32 v103, 0x2200, v38
	v_add_nc_u32_e32 v105, 0x2c00, v38
	v_add_f32_e32 v43, v76, v83
	v_dual_sub_f32 v44, v72, v77 :: v_dual_sub_f32 v71, v71, v80
	v_sub_f32_e32 v72, v74, v81
	v_lshl_add_u32 v40, v7, 2, 0
	v_lshl_add_u32 v41, v9, 2, 0
	v_mul_u32_u24_e32 v24, 9, v13
	v_lshl_add_u32 v42, v12, 2, 0
	v_sub_f32_e32 v74, v76, v83
	s_waitcnt lgkmcnt(0)
	s_barrier
	buffer_gl0_inv
	ds_load_2addr_b32 v[79:80], v99 offset0:64 offset1:224
	ds_load_2addr_b32 v[81:82], v101 offset1:160
	ds_load_2addr_b32 v[83:84], v103 offset0:64 offset1:224
	ds_load_2addr_b32 v[85:86], v104 offset1:160
	ds_load_2addr_b32 v[87:88], v105 offset0:64 offset1:224
	v_mad_i32_i24 v1, 0xffffffdc, v4, v37
	v_add_nc_u32_e32 v97, 0x80, v38
	ds_load_b32 v23, v38
	ds_load_b32 v106, v39
	;; [unrolled: 1-line block ×6, first 2 shown]
	ds_load_2addr_stride64_b32 v[89:90], v97 offset0:7 offset1:12
	ds_load_2addr_stride64_b32 v[91:92], v97 offset0:17 offset1:22
	s_waitcnt lgkmcnt(0)
	s_barrier
	buffer_gl0_inv
	ds_store_2addr_b64 v75, v[21:22], v[31:32] offset1:1
	ds_store_2addr_b64 v75, v[33:34], v[35:36] offset0:2 offset1:3
	ds_store_b64 v75, v[19:20] offset:32
	ds_store_2addr_b64 v37, v[17:18], v[29:30] offset1:1
	ds_store_2addr_b64 v37, v[43:44], v[71:72] offset0:2 offset1:3
	v_mul_lo_u16 v17, v16, 10
	v_lshlrev_b32_e32 v18, 3, v24
	ds_store_b64 v37, v[73:74] offset:32
	s_waitcnt lgkmcnt(0)
	s_barrier
	v_sub_nc_u16 v17, v0, v17
	buffer_gl0_inv
	s_clause 0x1
	global_load_b128 v[24:27], v18, s[4:5]
	global_load_b128 v[28:31], v18, s[4:5] offset:16
	v_mul_u32_u24_e32 v11, 0x190, v11
	v_and_b32_e32 v17, 0xff, v17
	v_and_b32_e32 v16, 0xffff, v16
	s_delay_alu instid0(VALU_DEP_2) | instskip(NEXT) | instid1(VALU_DEP_2)
	v_mul_u32_u24_e32 v19, 9, v17
	v_mul_u32_u24_e32 v16, 0x190, v16
	s_delay_alu instid0(VALU_DEP_2)
	v_lshlrev_b32_e32 v19, 3, v19
	s_clause 0x7
	global_load_b128 v[32:35], v19, s[4:5] offset:32
	global_load_b128 v[43:46], v18, s[4:5] offset:32
	global_load_b128 v[47:50], v19, s[4:5]
	global_load_b128 v[51:54], v19, s[4:5] offset:16
	global_load_b128 v[71:74], v19, s[4:5] offset:48
	global_load_b64 v[93:94], v19, s[4:5] offset:64
	global_load_b128 v[75:78], v18, s[4:5] offset:48
	global_load_b64 v[95:96], v18, s[4:5] offset:64
	ds_load_2addr_stride64_b32 v[21:22], v97 offset0:7 offset1:12
	ds_load_2addr_stride64_b32 v[97:98], v97 offset0:17 offset1:22
	ds_load_2addr_b32 v[99:100], v99 offset0:64 offset1:224
	ds_load_2addr_b32 v[101:102], v101 offset1:160
	s_waitcnt vmcnt(9) lgkmcnt(3)
	v_mul_f32_e32 v18, v21, v25
	v_dual_mul_f32 v19, v89, v25 :: v_dual_mul_f32 v20, v22, v27
	s_delay_alu instid0(VALU_DEP_2) | instskip(SKIP_1) | instid1(VALU_DEP_3)
	v_fma_f32 v18, v89, v24, -v18
	v_mul_f32_e32 v89, v90, v27
	v_fma_f32 v36, v90, v26, -v20
	s_waitcnt vmcnt(8) lgkmcnt(2)
	v_mul_f32_e32 v20, v97, v29
	v_fmac_f32_e32 v19, v21, v24
	v_mul_f32_e32 v21, v91, v29
	s_waitcnt vmcnt(7) lgkmcnt(0)
	v_dual_fmac_f32 v89, v22, v26 :: v_dual_mul_f32 v22, v101, v35
	v_mul_f32_e32 v35, v81, v35
	v_mul_f32_e32 v90, v92, v31
	v_fma_f32 v24, v91, v28, -v20
	v_mul_f32_e32 v20, v99, v33
	v_mul_f32_e32 v33, v79, v33
	v_fmac_f32_e32 v35, v101, v34
	v_mul_f32_e32 v25, v98, v31
	v_fmac_f32_e32 v21, v97, v28
	v_fma_f32 v79, v79, v32, -v20
	s_waitcnt vmcnt(6)
	v_mul_f32_e32 v20, v100, v44
	ds_load_b32 v97, v40
	v_fma_f32 v91, v92, v30, -v25
	ds_load_b32 v92, v39
	v_fmac_f32_e32 v33, v99, v32
	v_fma_f32 v32, v81, v34, -v22
	v_mul_f32_e32 v22, v80, v44
	ds_load_b32 v44, v41
	ds_load_b32 v34, v42
	v_fma_f32 v25, v80, v43, -v20
	ds_load_2addr_b32 v[26:27], v103 offset0:64 offset1:224
	ds_load_b32 v20, v1
	ds_load_b32 v80, v38
	ds_load_2addr_b32 v[28:29], v104 offset1:160
	v_fmac_f32_e32 v90, v98, v30
	v_mul_f32_e32 v30, v102, v46
	v_dual_fmac_f32 v22, v100, v43 :: v_dual_mul_f32 v43, v82, v46
	s_waitcnt vmcnt(5)
	v_mul_f32_e32 v46, v106, v48
	s_delay_alu instid0(VALU_DEP_3) | instskip(NEXT) | instid1(VALU_DEP_3)
	v_fma_f32 v81, v82, v45, -v30
	v_fmac_f32_e32 v43, v102, v45
	s_waitcnt lgkmcnt(6)
	v_dual_mul_f32 v31, v92, v48 :: v_dual_mul_f32 v48, v97, v50
	v_fmac_f32_e32 v46, v92, v47
	s_delay_alu instid0(VALU_DEP_2)
	v_fma_f32 v45, v106, v47, -v31
	ds_load_2addr_b32 v[30:31], v105 offset0:64 offset1:224
	s_waitcnt vmcnt(4) lgkmcnt(6)
	v_dual_mul_f32 v47, v107, v50 :: v_dual_mul_f32 v50, v44, v52
	v_mul_f32_e32 v52, v108, v52
	s_waitcnt lgkmcnt(5)
	v_mul_f32_e32 v82, v34, v54
	v_fma_f32 v48, v107, v49, -v48
	v_fmac_f32_e32 v47, v97, v49
	v_fma_f32 v49, v108, v51, -v50
	v_fmac_f32_e32 v52, v44, v51
	v_mul_f32_e32 v44, v109, v54
	s_waitcnt vmcnt(3)
	v_mul_f32_e32 v54, v83, v72
	v_fma_f32 v50, v109, v53, -v82
	s_waitcnt vmcnt(0) lgkmcnt(0)
	s_barrier
	v_fmac_f32_e32 v44, v34, v53
	v_fmac_f32_e32 v54, v26, v71
	v_dual_mul_f32 v51, v26, v72 :: v_dual_mul_f32 v72, v28, v74
	v_mul_f32_e32 v34, v85, v74
	v_mul_f32_e32 v74, v27, v76
	;; [unrolled: 1-line block ×3, first 2 shown]
	s_delay_alu instid0(VALU_DEP_4) | instskip(SKIP_4) | instid1(VALU_DEP_3)
	v_fma_f32 v51, v83, v71, -v51
	v_fma_f32 v53, v85, v73, -v72
	v_mul_f32_e32 v72, v87, v94
	v_dual_mul_f32 v71, v30, v94 :: v_dual_fmac_f32 v34, v28, v73
	v_dual_fmac_f32 v26, v27, v75 :: v_dual_mul_f32 v73, v86, v78
	v_fmac_f32_e32 v72, v30, v93
	v_fma_f32 v30, v84, v75, -v74
	v_mul_f32_e32 v74, v31, v96
	v_add_f32_e32 v75, v23, v48
	v_fma_f32 v28, v87, v93, -v71
	v_add_f32_e32 v27, v50, v32
	v_mul_f32_e32 v71, v29, v78
	v_fmac_f32_e32 v73, v29, v77
	v_fma_f32 v29, v88, v95, -v74
	v_dual_add_f32 v74, v75, v50 :: v_dual_add_f32 v83, v48, v53
	v_fma_f32 v27, -0.5, v27, v23
	v_fma_f32 v71, v86, v77, -v71
	v_sub_f32_e32 v77, v44, v35
	v_sub_f32_e32 v78, v48, v50
	;; [unrolled: 1-line block ×3, first 2 shown]
	v_mul_f32_e32 v84, v88, v96
	v_dual_add_f32 v74, v74, v32 :: v_dual_fmac_f32 v23, -0.5, v83
	v_sub_f32_e32 v76, v47, v34
	s_delay_alu instid0(VALU_DEP_4) | instskip(NEXT) | instid1(VALU_DEP_3)
	v_add_f32_e32 v78, v78, v82
	v_dual_fmac_f32 v84, v31, v95 :: v_dual_add_f32 v31, v74, v53
	s_delay_alu instid0(VALU_DEP_4) | instskip(SKIP_2) | instid1(VALU_DEP_3)
	v_fmamk_f32 v74, v77, 0xbf737871, v23
	v_dual_sub_f32 v82, v50, v48 :: v_dual_sub_f32 v83, v32, v53
	v_dual_fmac_f32 v23, 0x3f737871, v77 :: v_dual_add_f32 v86, v44, v35
	v_fmac_f32_e32 v74, 0x3f167918, v76
	v_sub_f32_e32 v48, v48, v53
	s_delay_alu instid0(VALU_DEP_3) | instskip(NEXT) | instid1(VALU_DEP_4)
	v_dual_add_f32 v82, v82, v83 :: v_dual_fmac_f32 v23, 0xbf167918, v76
	v_fma_f32 v83, -0.5, v86, v80
	v_sub_f32_e32 v32, v50, v32
	v_sub_f32_e32 v50, v47, v44
	s_delay_alu instid0(VALU_DEP_4)
	v_fmac_f32_e32 v74, 0x3e9e377a, v82
	v_dual_fmac_f32 v23, 0x3e9e377a, v82 :: v_dual_sub_f32 v82, v79, v49
	v_fmamk_f32 v75, v76, 0x3f737871, v27
	v_fmac_f32_e32 v27, 0xbf737871, v76
	v_fmamk_f32 v76, v48, 0xbf737871, v83
	buffer_gl0_inv
	v_fmac_f32_e32 v75, 0x3f167918, v77
	v_dual_fmac_f32 v27, 0xbf167918, v77 :: v_dual_fmac_f32 v76, 0xbf167918, v32
	s_delay_alu instid0(VALU_DEP_2) | instskip(NEXT) | instid1(VALU_DEP_2)
	v_fmac_f32_e32 v75, 0x3e9e377a, v78
	v_dual_fmac_f32 v27, 0x3e9e377a, v78 :: v_dual_sub_f32 v78, v34, v35
	s_delay_alu instid0(VALU_DEP_1) | instskip(NEXT) | instid1(VALU_DEP_1)
	v_dual_fmac_f32 v83, 0x3f737871, v48 :: v_dual_add_f32 v50, v50, v78
	v_fmac_f32_e32 v83, 0x3f167918, v32
	s_delay_alu instid0(VALU_DEP_2) | instskip(NEXT) | instid1(VALU_DEP_2)
	v_dual_fmac_f32 v76, 0x3e9e377a, v50 :: v_dual_lshlrev_b32 v13, 2, v13
	v_dual_fmac_f32 v83, 0x3e9e377a, v50 :: v_dual_sub_f32 v50, v28, v51
	v_add_f32_e32 v85, v80, v47
	s_delay_alu instid0(VALU_DEP_1) | instskip(SKIP_2) | instid1(VALU_DEP_3)
	v_dual_add_f32 v77, v85, v44 :: v_dual_sub_f32 v44, v44, v47
	v_sub_f32_e32 v85, v51, v28
	v_lshlrev_b32_e32 v17, 2, v17
	v_add_f32_e32 v53, v77, v35
	v_add_f32_e32 v77, v47, v34
	v_sub_f32_e32 v47, v52, v72
	s_delay_alu instid0(VALU_DEP_2) | instskip(SKIP_1) | instid1(VALU_DEP_2)
	v_dual_add_f32 v53, v53, v34 :: v_dual_fmac_f32 v80, -0.5, v77
	v_dual_sub_f32 v34, v35, v34 :: v_dual_add_f32 v35, v45, v49
	v_fmamk_f32 v77, v32, 0x3f737871, v80
	v_fmac_f32_e32 v80, 0xbf737871, v32
	s_delay_alu instid0(VALU_DEP_3) | instskip(NEXT) | instid1(VALU_DEP_4)
	v_add_f32_e32 v34, v44, v34
	v_add_f32_e32 v32, v35, v79
	;; [unrolled: 1-line block ×3, first 2 shown]
	v_fmac_f32_e32 v77, 0xbf167918, v48
	v_fmac_f32_e32 v80, 0x3f167918, v48
	v_add_f32_e32 v44, v49, v28
	v_add_f32_e32 v32, v32, v51
	v_fma_f32 v35, -0.5, v35, v45
	v_fmac_f32_e32 v77, 0x3e9e377a, v34
	v_fmac_f32_e32 v80, 0x3e9e377a, v34
	v_dual_sub_f32 v34, v33, v54 :: v_dual_fmac_f32 v45, -0.5, v44
	v_sub_f32_e32 v48, v49, v79
	v_fmamk_f32 v44, v47, 0x3f737871, v35
	v_add_f32_e32 v32, v32, v28
	v_sub_f32_e32 v28, v49, v28
	v_fmamk_f32 v78, v34, 0xbf737871, v45
	v_add_f32_e32 v48, v48, v50
	v_add_f32_e32 v50, v82, v85
	v_dual_fmac_f32 v44, 0x3f167918, v34 :: v_dual_sub_f32 v49, v79, v51
	s_delay_alu instid0(VALU_DEP_4) | instskip(SKIP_1) | instid1(VALU_DEP_3)
	v_dual_fmac_f32 v78, 0x3f167918, v47 :: v_dual_sub_f32 v51, v72, v54
	v_sub_f32_e32 v82, v54, v72
	v_fmac_f32_e32 v44, 0x3e9e377a, v48
	s_delay_alu instid0(VALU_DEP_3) | instskip(SKIP_1) | instid1(VALU_DEP_1)
	v_fmac_f32_e32 v78, 0x3e9e377a, v50
	v_fmac_f32_e32 v35, 0xbf737871, v47
	;; [unrolled: 1-line block ×3, first 2 shown]
	s_delay_alu instid0(VALU_DEP_1) | instskip(SKIP_1) | instid1(VALU_DEP_1)
	v_fmac_f32_e32 v35, 0x3e9e377a, v48
	v_dual_add_f32 v48, v46, v52 :: v_dual_fmac_f32 v45, 0x3f737871, v34
	v_dual_add_f32 v34, v33, v54 :: v_dual_fmac_f32 v45, 0xbf167918, v47
	v_add_f32_e32 v47, v52, v72
	s_delay_alu instid0(VALU_DEP_2) | instskip(NEXT) | instid1(VALU_DEP_2)
	v_fma_f32 v34, -0.5, v34, v46
	v_dual_fmac_f32 v45, 0x3e9e377a, v50 :: v_dual_fmac_f32 v46, -0.5, v47
	v_sub_f32_e32 v50, v52, v33
	v_dual_sub_f32 v52, v33, v52 :: v_dual_add_f32 v33, v48, v33
	s_delay_alu instid0(VALU_DEP_3) | instskip(NEXT) | instid1(VALU_DEP_3)
	v_mul_f32_e32 v48, 0x3e9e377a, v45
	v_dual_fmamk_f32 v79, v49, 0x3f737871, v46 :: v_dual_add_f32 v50, v50, v51
	s_delay_alu instid0(VALU_DEP_3) | instskip(NEXT) | instid1(VALU_DEP_2)
	v_dual_add_f32 v51, v52, v82 :: v_dual_fmac_f32 v46, 0xbf737871, v49
	v_fmac_f32_e32 v79, 0xbf167918, v28
	s_delay_alu instid0(VALU_DEP_2) | instskip(NEXT) | instid1(VALU_DEP_2)
	v_fmac_f32_e32 v46, 0x3f167918, v28
	v_fmac_f32_e32 v79, 0x3e9e377a, v51
	s_delay_alu instid0(VALU_DEP_2) | instskip(NEXT) | instid1(VALU_DEP_2)
	v_fmac_f32_e32 v46, 0x3e9e377a, v51
	v_mul_f32_e32 v52, 0x3f737871, v79
	s_delay_alu instid0(VALU_DEP_1) | instskip(NEXT) | instid1(VALU_DEP_1)
	v_fmac_f32_e32 v52, 0x3e9e377a, v78
	v_dual_mul_f32 v78, 0xbf737871, v78 :: v_dual_add_f32 v85, v74, v52
	s_delay_alu instid0(VALU_DEP_1)
	v_fmac_f32_e32 v78, 0x3e9e377a, v79
	v_fmamk_f32 v47, v28, 0xbf737871, v34
	v_fmac_f32_e32 v34, 0x3f737871, v28
	v_add_f32_e32 v28, v33, v54
	v_fma_f32 v54, 0x3f737871, v46, -v48
	v_mul_f32_e32 v46, 0x3e9e377a, v46
	v_fmac_f32_e32 v47, 0xbf167918, v49
	v_fmac_f32_e32 v34, 0x3f167918, v49
	v_add_f32_e32 v28, v28, v72
	v_add_f32_e32 v86, v23, v54
	v_sub_f32_e32 v23, v23, v54
	v_fmac_f32_e32 v47, 0x3e9e377a, v50
	v_fmac_f32_e32 v34, 0x3e9e377a, v50
	v_add_f32_e32 v50, v53, v28
	v_sub_f32_e32 v53, v53, v28
	s_delay_alu instid0(VALU_DEP_4) | instskip(SKIP_2) | instid1(VALU_DEP_3)
	v_dual_add_f32 v72, v31, v32 :: v_dual_mul_f32 v33, 0x3f167918, v47
	v_sub_f32_e32 v31, v31, v32
	v_add_f32_e32 v79, v20, v89
	v_fmac_f32_e32 v33, 0x3f4f1bbd, v44
	v_mul_f32_e32 v44, 0xbf167918, v44
	s_delay_alu instid0(VALU_DEP_1) | instskip(NEXT) | instid1(VALU_DEP_1)
	v_dual_fmac_f32 v44, 0x3f4f1bbd, v47 :: v_dual_add_f32 v47, v15, v36
	v_sub_f32_e32 v54, v76, v44
	v_fma_f32 v45, 0xbf737871, v45, -v46
	v_add_f32_e32 v46, v77, v78
	v_mul_f32_e32 v48, 0x3f4f1bbd, v35
	v_dual_add_f32 v28, v47, v91 :: v_dual_add_f32 v51, v76, v44
	v_sub_f32_e32 v76, v36, v91
	v_sub_f32_e32 v44, v80, v45
	s_delay_alu instid0(VALU_DEP_4)
	v_fma_f32 v87, 0x3f167918, v34, -v48
	v_mul_f32_e32 v34, 0x3f4f1bbd, v34
	v_add_f32_e32 v28, v28, v81
	v_add_f32_e32 v48, v80, v45
	;; [unrolled: 1-line block ×4, first 2 shown]
	v_fma_f32 v34, 0xbf167918, v35, -v34
	v_dual_sub_f32 v35, v74, v52 :: v_dual_sub_f32 v74, v77, v78
	v_dual_sub_f32 v77, v71, v81 :: v_dual_add_f32 v78, v36, v71
	v_add_f32_e32 v28, v28, v71
	v_add_f32_e32 v82, v75, v33
	v_sub_f32_e32 v32, v75, v33
	v_add_f32_e32 v33, v91, v81
	v_dual_add_f32 v76, v76, v77 :: v_dual_sub_f32 v77, v91, v36
	v_dual_sub_f32 v52, v89, v73 :: v_dual_add_f32 v49, v83, v34
	s_delay_alu instid0(VALU_DEP_3) | instskip(SKIP_3) | instid1(VALU_DEP_3)
	v_fma_f32 v33, -0.5, v33, v15
	v_dual_fmac_f32 v15, -0.5, v78 :: v_dual_sub_f32 v78, v81, v71
	v_dual_sub_f32 v45, v83, v34 :: v_dual_sub_f32 v36, v36, v71
	v_sub_f32_e32 v83, v25, v24
	v_add_f32_e32 v77, v77, v78
	v_fma_f32 v78, -0.5, v80, v20
	v_fmamk_f32 v47, v52, 0x3f737871, v33
	v_dual_fmac_f32 v33, 0xbf737871, v52 :: v_dual_sub_f32 v80, v73, v43
	s_delay_alu instid0(VALU_DEP_3) | instskip(SKIP_1) | instid1(VALU_DEP_1)
	v_fmamk_f32 v71, v36, 0xbf737871, v78
	v_dual_fmac_f32 v78, 0x3f737871, v36 :: v_dual_sub_f32 v75, v90, v43
	v_fmac_f32_e32 v47, 0x3f167918, v75
	s_delay_alu instid0(VALU_DEP_4) | instskip(NEXT) | instid1(VALU_DEP_2)
	v_fmac_f32_e32 v33, 0xbf167918, v75
	v_fmac_f32_e32 v47, 0x3e9e377a, v76
	s_delay_alu instid0(VALU_DEP_2) | instskip(NEXT) | instid1(VALU_DEP_1)
	v_dual_fmac_f32 v33, 0x3e9e377a, v76 :: v_dual_sub_f32 v76, v91, v81
	v_fmac_f32_e32 v78, 0x3f167918, v76
	v_fmamk_f32 v34, v75, 0xbf737871, v15
	v_fmac_f32_e32 v15, 0x3f737871, v75
	v_add_f32_e32 v75, v79, v90
	v_sub_f32_e32 v79, v89, v90
	v_fmac_f32_e32 v71, 0xbf167918, v76
	v_fmac_f32_e32 v34, 0x3f167918, v52
	s_delay_alu instid0(VALU_DEP_4)
	v_dual_fmac_f32 v15, 0xbf167918, v52 :: v_dual_add_f32 v52, v75, v43
	v_add_f32_e32 v75, v89, v73
	v_sub_f32_e32 v43, v43, v73
	v_sub_f32_e32 v27, v27, v87
	;; [unrolled: 1-line block ×3, first 2 shown]
	v_add_f32_e32 v52, v52, v73
	v_dual_fmac_f32 v20, -0.5, v75 :: v_dual_add_f32 v75, v79, v80
	v_dual_sub_f32 v79, v90, v89 :: v_dual_sub_f32 v80, v29, v30
	v_add_f32_e32 v73, v18, v24
	s_delay_alu instid0(VALU_DEP_3) | instskip(NEXT) | instid1(VALU_DEP_3)
	v_fmac_f32_e32 v71, 0x3e9e377a, v75
	v_add_f32_e32 v43, v79, v43
	v_sub_f32_e32 v79, v24, v25
	s_delay_alu instid0(VALU_DEP_4) | instskip(SKIP_1) | instid1(VALU_DEP_3)
	v_dual_add_f32 v73, v73, v25 :: v_dual_fmac_f32 v78, 0x3e9e377a, v75
	v_add_f32_e32 v75, v24, v29
	v_dual_sub_f32 v24, v24, v29 :: v_dual_add_f32 v79, v79, v80
	v_add_f32_e32 v80, v83, v87
	v_fmac_f32_e32 v34, 0x3e9e377a, v77
	v_fmac_f32_e32 v15, 0x3e9e377a, v77
	v_fmamk_f32 v77, v76, 0x3f737871, v20
	v_fmac_f32_e32 v20, 0xbf737871, v76
	v_add_f32_e32 v76, v25, v30
	v_sub_f32_e32 v25, v25, v30
	v_sub_f32_e32 v83, v26, v84
	v_fmac_f32_e32 v77, 0xbf167918, v36
	v_fmac_f32_e32 v20, 0x3f167918, v36
	v_add_f32_e32 v36, v73, v30
	v_fma_f32 v73, -0.5, v76, v18
	v_sub_f32_e32 v76, v21, v84
	v_fmac_f32_e32 v18, -0.5, v75
	v_fmac_f32_e32 v20, 0x3e9e377a, v43
	v_fmac_f32_e32 v77, 0x3e9e377a, v43
	v_dual_sub_f32 v43, v22, v26 :: v_dual_add_f32 v36, v36, v29
	v_fmamk_f32 v75, v76, 0x3f737871, v73
	v_fmac_f32_e32 v73, 0xbf737871, v76
	v_add_f32_e32 v29, v19, v21
	s_delay_alu instid0(VALU_DEP_4)
	v_fmamk_f32 v81, v43, 0xbf737871, v18
	v_fmac_f32_e32 v18, 0x3f737871, v43
	v_fmac_f32_e32 v75, 0x3f167918, v43
	;; [unrolled: 1-line block ×3, first 2 shown]
	v_add_f32_e32 v43, v22, v26
	v_fmac_f32_e32 v81, 0x3f167918, v76
	v_fmac_f32_e32 v18, 0xbf167918, v76
	v_add_f32_e32 v76, v21, v84
	s_delay_alu instid0(VALU_DEP_4) | instskip(NEXT) | instid1(VALU_DEP_4)
	v_fma_f32 v43, -0.5, v43, v19
	v_fmac_f32_e32 v81, 0x3e9e377a, v80
	s_delay_alu instid0(VALU_DEP_4) | instskip(NEXT) | instid1(VALU_DEP_4)
	v_fmac_f32_e32 v18, 0x3e9e377a, v80
	v_dual_fmac_f32 v19, -0.5, v76 :: v_dual_sub_f32 v76, v21, v22
	s_delay_alu instid0(VALU_DEP_4) | instskip(SKIP_1) | instid1(VALU_DEP_3)
	v_dual_fmamk_f32 v30, v24, 0xbf737871, v43 :: v_dual_sub_f32 v21, v22, v21
	v_add_f32_e32 v22, v29, v22
	v_dual_fmamk_f32 v80, v25, 0x3f737871, v19 :: v_dual_add_f32 v29, v28, v36
	v_sub_f32_e32 v28, v28, v36
	v_add_nc_u32_e32 v36, 0x2000, v38
	v_fmac_f32_e32 v75, 0x3e9e377a, v79
	v_fmac_f32_e32 v73, 0x3e9e377a, v79
	v_dual_sub_f32 v79, v84, v26 :: v_dual_fmac_f32 v30, 0xbf167918, v25
	v_fmac_f32_e32 v19, 0xbf737871, v25
	v_dual_fmac_f32 v80, 0xbf167918, v24 :: v_dual_add_f32 v21, v21, v83
	s_delay_alu instid0(VALU_DEP_3) | instskip(NEXT) | instid1(VALU_DEP_3)
	v_dual_add_f32 v76, v76, v79 :: v_dual_fmac_f32 v43, 0x3f737871, v24
	v_dual_fmac_f32 v19, 0x3f167918, v24 :: v_dual_add_f32 v22, v22, v26
	s_delay_alu instid0(VALU_DEP_3) | instskip(NEXT) | instid1(VALU_DEP_3)
	v_fmac_f32_e32 v80, 0x3e9e377a, v21
	v_fmac_f32_e32 v30, 0x3e9e377a, v76
	s_delay_alu instid0(VALU_DEP_4) | instskip(NEXT) | instid1(VALU_DEP_4)
	v_fmac_f32_e32 v43, 0x3f167918, v25
	v_fmac_f32_e32 v19, 0x3e9e377a, v21
	v_mul_f32_e32 v25, 0x3e9e377a, v18
	v_mul_f32_e32 v24, 0x3f737871, v80
	v_mul_f32_e32 v21, 0x3f167918, v30
	v_fmac_f32_e32 v43, 0x3e9e377a, v76
	v_mul_f32_e32 v26, 0x3f4f1bbd, v73
	v_fma_f32 v25, 0x3f737871, v19, -v25
	v_fmac_f32_e32 v24, 0x3e9e377a, v81
	v_fmac_f32_e32 v21, 0x3f4f1bbd, v75
	v_mul_f32_e32 v75, 0xbf167918, v75
	v_mul_f32_e32 v81, 0xbf737871, v81
	v_fma_f32 v26, 0x3f167918, v43, -v26
	v_add_f32_e32 v83, v15, v25
	s_delay_alu instid0(VALU_DEP_4) | instskip(NEXT) | instid1(VALU_DEP_4)
	v_dual_add_f32 v76, v47, v21 :: v_dual_fmac_f32 v75, 0x3f4f1bbd, v30
	v_fmac_f32_e32 v81, 0x3e9e377a, v80
	v_dual_sub_f32 v15, v15, v25 :: v_dual_add_f32 v22, v22, v84
	s_delay_alu instid0(VALU_DEP_3) | instskip(NEXT) | instid1(VALU_DEP_3)
	v_dual_add_f32 v79, v34, v24 :: v_dual_add_f32 v80, v71, v75
	v_add_f32_e32 v87, v77, v81
	v_sub_f32_e32 v71, v71, v75
	v_sub_f32_e32 v75, v77, v81
	v_add3_u32 v81, 0, v16, v17
	v_mul_f32_e32 v19, 0x3e9e377a, v19
	v_dual_mul_f32 v43, 0x3f4f1bbd, v43 :: v_dual_add_f32 v84, v33, v26
	v_sub_f32_e32 v21, v47, v21
	ds_store_2addr_b32 v81, v72, v82 offset1:10
	v_add3_u32 v72, 0, v11, v13
	v_dual_sub_f32 v24, v34, v24 :: v_dual_sub_f32 v25, v33, v26
	ds_store_2addr_b32 v81, v85, v86 offset0:20 offset1:30
	ds_store_2addr_b32 v81, v88, v31 offset0:40 offset1:50
	;; [unrolled: 1-line block ×4, first 2 shown]
	ds_store_2addr_b32 v72, v29, v76 offset1:10
	ds_store_2addr_b32 v72, v79, v83 offset0:20 offset1:30
	ds_store_2addr_b32 v72, v84, v28 offset0:40 offset1:50
	;; [unrolled: 1-line block ×4, first 2 shown]
	v_lshrrev_b16 v15, 2, v6
	v_fma_f32 v18, 0xbf737871, v18, -v19
	v_fma_f32 v19, 0xbf167918, v73, -v43
	v_add_nc_u32_e32 v13, 0x1600, v38
	v_add_nc_u32_e32 v31, 0x1b00, v38
	;; [unrolled: 1-line block ×4, first 2 shown]
	v_and_b32_e32 v15, 0xffff, v15
	v_add_nc_u32_e32 v33, 0x2500, v38
	v_add_nc_u32_e32 v34, 0x2a00, v38
	v_lshl_add_u32 v35, v6, 2, 0
	v_lshl_add_u32 v32, v8, 2, 0
	v_add_f32_e32 v73, v52, v22
	v_dual_add_f32 v89, v20, v18 :: v_dual_add_f32 v90, v78, v19
	v_sub_f32_e32 v91, v52, v22
	v_dual_sub_f32 v77, v20, v18 :: v_dual_sub_f32 v78, v78, v19
	s_waitcnt lgkmcnt(0)
	s_barrier
	buffer_gl0_inv
	ds_load_2addr_stride64_b32 v[17:18], v38 offset1:15
	ds_load_2addr_b32 v[25:26], v13 offset0:32 offset1:192
	ds_load_2addr_b32 v[19:20], v33 offset0:32 offset1:192
	;; [unrolled: 1-line block ×6, first 2 shown]
	ds_load_b32 v99, v1
	ds_load_b32 v47, v35
	;; [unrolled: 1-line block ×5, first 2 shown]
	ds_load_b32 v101, v38 offset:12160
	s_waitcnt lgkmcnt(0)
	s_barrier
	buffer_gl0_inv
	ds_store_2addr_b32 v81, v50, v51 offset1:10
	v_cndmask_b32_e64 v102, v16, v0, s0
	v_mul_u32_u24_e32 v16, 0x147b, v15
	ds_store_2addr_b32 v81, v46, v48 offset0:20 offset1:30
	ds_store_2addr_b32 v81, v49, v53 offset0:40 offset1:50
	;; [unrolled: 1-line block ×3, first 2 shown]
	v_lshrrev_b16 v46, 2, v7
	ds_store_2addr_b32 v81, v44, v45 offset0:80 offset1:90
	ds_store_2addr_b32 v72, v73, v80 offset1:10
	v_mul_i32_i24_e32 v15, 3, v102
	v_lshrrev_b32_e32 v103, 17, v16
	v_mov_b32_e32 v16, 0
	v_and_b32_e32 v46, 0xffff, v46
	v_lshrrev_b16 v49, 2, v4
	ds_store_2addr_b32 v72, v87, v89 offset0:20 offset1:30
	v_mul_lo_u16 v48, 0x64, v103
	v_lshlrev_b64 v[44:45], 3, v[15:16]
	v_mul_u32_u24_e32 v15, 0x147b, v46
	v_lshrrev_b16 v46, 2, v5
	v_and_b32_e32 v53, 0xffff, v49
	v_sub_nc_u16 v48, v6, v48
	ds_store_2addr_b32 v72, v90, v91 offset0:40 offset1:50
	v_lshrrev_b32_e32 v15, 17, v15
	v_and_b32_e32 v46, 0xffff, v46
	v_add_co_u32 v44, s0, s4, v44
	v_and_b32_e32 v104, 0xffff, v48
	s_delay_alu instid0(VALU_DEP_4) | instskip(NEXT) | instid1(VALU_DEP_4)
	v_mul_lo_u16 v48, 0x64, v15
	v_mul_u32_u24_e32 v46, 0x147b, v46
	v_add_co_ci_u32_e64 v45, s0, s5, v45, s0
	s_delay_alu instid0(VALU_DEP_4) | instskip(NEXT) | instid1(VALU_DEP_4)
	v_mul_u32_u24_e32 v54, 3, v104
	v_sub_nc_u16 v48, v7, v48
	s_delay_alu instid0(VALU_DEP_4)
	v_lshrrev_b32_e32 v46, 17, v46
	ds_store_2addr_b32 v72, v71, v75 offset0:60 offset1:70
	ds_store_2addr_b32 v72, v77, v78 offset0:80 offset1:90
	s_waitcnt lgkmcnt(0)
	s_barrier
	v_and_b32_e32 v105, 0xffff, v48
	buffer_gl0_inv
	global_load_b128 v[48:51], v[44:45], off offset:720
	v_mul_lo_u16 v71, 0x64, v46
	v_mul_u32_u24_e32 v53, 0x147b, v53
	v_lshlrev_b32_e32 v89, 3, v54
	v_mul_u32_u24_e32 v54, 3, v105
	v_cmp_lt_u32_e64 s0, 0x63, v0
	v_sub_nc_u16 v75, v5, v71
	v_lshrrev_b32_e32 v106, 17, v53
	global_load_b128 v[71:74], v89, s[4:5] offset:720
	v_lshlrev_b32_e32 v91, 3, v54
	v_mul_u32_u24_e32 v46, 0x640, v46
	v_and_b32_e32 v107, 0xffff, v75
	v_mul_lo_u16 v53, 0x64, v106
	v_mul_u32_u24_e32 v15, 0x640, v15
	global_load_b128 v[75:78], v91, s[4:5] offset:720
	v_mul_u32_u24_e32 v54, 3, v107
	v_sub_nc_u16 v53, v4, v53
	s_delay_alu instid0(VALU_DEP_2) | instskip(NEXT) | instid1(VALU_DEP_2)
	v_lshlrev_b32_e32 v87, 3, v54
	v_and_b32_e32 v108, 0xffff, v53
	global_load_b128 v[79:82], v87, s[4:5] offset:720
	v_mul_u32_u24_e32 v53, 3, v108
	s_delay_alu instid0(VALU_DEP_1)
	v_lshlrev_b32_e32 v53, 3, v53
	s_clause 0x5
	global_load_b128 v[83:86], v53, s[4:5] offset:720
	global_load_b64 v[44:45], v[44:45], off offset:736
	global_load_b64 v[53:54], v53, s[4:5] offset:736
	global_load_b64 v[87:88], v87, s[4:5] offset:736
	;; [unrolled: 1-line block ×4, first 2 shown]
	ds_load_b32 v109, v32
	ds_load_2addr_b32 v[93:94], v13 offset0:32 offset1:192
	ds_load_2addr_b32 v[95:96], v11 offset0:32 offset1:192
	;; [unrolled: 1-line block ×3, first 2 shown]
	ds_load_b32 v110, v35
	ds_load_b32 v111, v1
	;; [unrolled: 1-line block ×3, first 2 shown]
	s_waitcnt vmcnt(9) lgkmcnt(6)
	v_mul_f32_e32 v113, v109, v49
	s_waitcnt lgkmcnt(5)
	v_dual_mul_f32 v114, v100, v49 :: v_dual_mul_f32 v49, v94, v51
	v_mul_f32_e32 v115, v26, v51
	s_delay_alu instid0(VALU_DEP_3) | instskip(NEXT) | instid1(VALU_DEP_3)
	v_fma_f32 v100, v100, v48, -v113
	v_fmac_f32_e32 v114, v109, v48
	s_delay_alu instid0(VALU_DEP_4)
	v_fma_f32 v109, v26, v50, -v49
	s_waitcnt vmcnt(8) lgkmcnt(4)
	v_mul_f32_e32 v26, v96, v72
	ds_load_2addr_b32 v[48:49], v31 offset0:32 offset1:192
	v_mul_f32_e32 v113, v28, v72
	s_waitcnt lgkmcnt(4)
	v_mul_f32_e32 v51, v97, v74
	v_fmac_f32_e32 v115, v94, v50
	v_mul_f32_e32 v94, v29, v74
	v_fma_f32 v72, v28, v71, -v26
	s_waitcnt vmcnt(7)
	v_dual_mul_f32 v26, v93, v76 :: v_dual_fmac_f32 v113, v96, v71
	v_fma_f32 v71, v29, v73, -v51
	v_mul_f32_e32 v96, v25, v76
	ds_load_2addr_stride64_b32 v[28:29], v38 offset1:15
	v_mul_f32_e32 v50, v98, v78
	v_fmac_f32_e32 v94, v97, v73
	v_fma_f32 v73, v25, v75, -v26
	ds_load_2addr_b32 v[25:26], v33 offset0:32 offset1:192
	v_fmac_f32_e32 v96, v93, v75
	v_fma_f32 v74, v30, v77, -v50
	ds_load_2addr_b32 v[50:51], v34 offset0:32 offset1:192
	s_waitcnt vmcnt(6)
	v_dual_mul_f32 v93, v30, v78 :: v_dual_mul_f32 v30, v95, v80
	s_waitcnt lgkmcnt(3)
	v_dual_mul_f32 v80, v27, v80 :: v_dual_mul_f32 v75, v49, v82
	v_mul_f32_e32 v82, v24, v82
	ds_load_b32 v76, v38 offset:12160
	v_fma_f32 v27, v27, v79, -v30
	v_fmac_f32_e32 v80, v95, v79
	s_waitcnt vmcnt(5)
	v_dual_mul_f32 v30, v48, v86 :: v_dual_mul_f32 v79, v18, v84
	v_fma_f32 v24, v24, v81, -v75
	v_dual_fmac_f32 v82, v49, v81 :: v_dual_mul_f32 v49, v23, v86
	s_waitcnt lgkmcnt(3)
	v_mul_f32_e32 v75, v29, v84
	v_fma_f32 v23, v23, v85, -v30
	v_fmac_f32_e32 v79, v29, v83
	s_waitcnt vmcnt(4) lgkmcnt(2)
	v_mul_f32_e32 v30, v25, v45
	v_mul_f32_e32 v29, v19, v45
	s_waitcnt vmcnt(3)
	v_mul_f32_e32 v45, v20, v54
	v_fma_f32 v18, v18, v83, -v75
	v_fmac_f32_e32 v49, v48, v85
	v_fma_f32 v19, v19, v44, -v30
	v_mul_f32_e32 v30, v26, v54
	s_waitcnt vmcnt(1) lgkmcnt(1)
	v_dual_fmac_f32 v45, v26, v53 :: v_dual_mul_f32 v26, v51, v90
	v_fmac_f32_e32 v29, v25, v44
	v_mul_f32_e32 v25, v21, v88
	v_fma_f32 v20, v20, v53, -v30
	v_mul_f32_e32 v30, v22, v90
	v_fma_f32 v22, v22, v89, -v26
	v_dual_sub_f32 v26, v17, v109 :: v_dual_sub_f32 v19, v100, v19
	v_mul_f32_e32 v48, v50, v88
	s_delay_alu instid0(VALU_DEP_4)
	v_dual_fmac_f32 v25, v50, v87 :: v_dual_fmac_f32 v30, v51, v89
	s_waitcnt vmcnt(0)
	v_mul_f32_e32 v50, v101, v92
	v_fma_f32 v17, v17, 2.0, -v26
	v_fma_f32 v51, v100, 2.0, -v19
	v_sub_f32_e32 v29, v114, v29
	v_cndmask_b32_e64 v53, 0, 0x640, s0
	v_dual_sub_f32 v23, v99, v23 :: v_dual_lshlrev_b32 v54, 2, v102
	v_sub_f32_e32 v20, v18, v20
	v_fma_f32 v21, v21, v87, -v48
	ds_load_b32 v44, v39
	s_waitcnt lgkmcnt(1)
	v_dual_mul_f32 v48, v76, v92 :: v_dual_sub_f32 v51, v17, v51
	v_dual_sub_f32 v75, v26, v29 :: v_dual_fmac_f32 v50, v76, v91
	v_sub_f32_e32 v76, v28, v115
	v_add3_u32 v81, 0, v53, v54
	v_fma_f32 v53, v99, 2.0, -v23
	v_fma_f32 v18, v18, 2.0, -v20
	v_fma_f32 v48, v101, v91, -v48
	v_fma_f32 v17, v17, 2.0, -v51
	v_fma_f32 v26, v26, 2.0, -v75
	;; [unrolled: 1-line block ×4, first 2 shown]
	v_sub_f32_e32 v18, v53, v18
	v_sub_f32_e32 v22, v72, v22
	v_dual_sub_f32 v24, v52, v24 :: v_dual_sub_f32 v21, v27, v21
	s_waitcnt lgkmcnt(0)
	s_barrier
	buffer_gl0_inv
	v_sub_f32_e32 v83, v28, v29
	ds_store_2addr_b32 v81, v17, v26 offset1:100
	v_sub_f32_e32 v17, v79, v45
	v_fma_f32 v29, v53, 2.0, -v18
	v_add_nc_u32_e32 v45, 0x200, v81
	v_sub_f32_e32 v53, v47, v71
	v_fma_f32 v54, v72, 2.0, -v22
	v_mul_u32_u24_e32 v71, 0x640, v106
	v_lshlrev_b32_e32 v72, 2, v108
	v_dual_sub_f32 v48, v73, v48 :: v_dual_add_f32 v19, v76, v19
	v_sub_f32_e32 v74, v43, v74
	v_fma_f32 v52, v52, 2.0, -v24
	v_fma_f32 v27, v27, 2.0, -v21
	v_sub_f32_e32 v25, v80, v25
	ds_store_2addr_b32 v45, v51, v75 offset0:72 offset1:172
	v_sub_f32_e32 v51, v23, v17
	v_add3_u32 v85, 0, v71, v72
	v_fma_f32 v72, v73, 2.0, -v48
	v_lshlrev_b32_e32 v73, 2, v107
	v_fma_f32 v47, v47, 2.0, -v53
	v_sub_f32_e32 v84, v113, v30
	v_fma_f32 v26, v28, 2.0, -v83
	v_fma_f32 v28, v76, 2.0, -v19
	v_mul_u32_u24_e32 v75, 0x640, v103
	v_lshlrev_b32_e32 v76, 2, v104
	v_fma_f32 v43, v43, 2.0, -v74
	v_dual_sub_f32 v50, v96, v50 :: v_dual_fmac_f32 v93, v98, v77
	v_sub_f32_e32 v27, v52, v27
	v_sub_f32_e32 v30, v24, v25
	v_lshlrev_b32_e32 v77, 2, v105
	v_fma_f32 v23, v23, 2.0, -v51
	v_add3_u32 v46, 0, v46, v73
	v_dual_sub_f32 v54, v47, v54 :: v_dual_sub_f32 v71, v53, v84
	v_add3_u32 v86, 0, v75, v76
	v_dual_sub_f32 v72, v43, v72 :: v_dual_add_nc_u32 v87, 0x200, v85
	v_sub_f32_e32 v73, v74, v50
	v_fma_f32 v52, v52, 2.0, -v27
	v_fma_f32 v24, v24, 2.0, -v30
	v_add3_u32 v15, 0, v15, v77
	ds_store_2addr_b32 v85, v29, v23 offset1:100
	v_add_nc_u32_e32 v23, 0x200, v46
	v_fma_f32 v47, v47, 2.0, -v54
	v_fma_f32 v53, v53, 2.0, -v71
	ds_store_2addr_b32 v87, v18, v51 offset0:72 offset1:172
	v_add_nc_u32_e32 v18, 0x200, v86
	v_fma_f32 v43, v43, 2.0, -v72
	v_fma_f32 v74, v74, 2.0, -v73
	ds_store_2addr_b32 v46, v52, v24 offset1:100
	v_add_nc_u32_e32 v24, 0x200, v15
	ds_store_2addr_b32 v23, v27, v30 offset0:72 offset1:172
	ds_store_2addr_b32 v86, v47, v53 offset1:100
	ds_store_2addr_b32 v18, v54, v71 offset0:72 offset1:172
	ds_store_2addr_b32 v15, v43, v74 offset1:100
	ds_store_2addr_b32 v24, v72, v73 offset0:72 offset1:172
	v_sub_f32_e32 v27, v111, v49
	v_sub_f32_e32 v49, v112, v93
	;; [unrolled: 1-line block ×3, first 2 shown]
	s_waitcnt lgkmcnt(0)
	s_barrier
	buffer_gl0_inv
	v_add_f32_e32 v20, v27, v20
	v_add_f32_e32 v48, v49, v48
	ds_load_2addr_stride64_b32 v[29:30], v38 offset1:15
	ds_load_2addr_b32 v[51:52], v13 offset0:32 offset1:192
	ds_load_2addr_b32 v[53:54], v33 offset0:32 offset1:192
	ds_load_2addr_b32 v[71:72], v31 offset0:32 offset1:192
	ds_load_b32 v97, v1
	ds_load_b32 v98, v35
	;; [unrolled: 1-line block ×5, first 2 shown]
	ds_load_b32 v102, v38 offset:12160
	ds_load_2addr_b32 v[73:74], v11 offset0:32 offset1:192
	ds_load_2addr_b32 v[75:76], v34 offset0:32 offset1:192
	;; [unrolled: 1-line block ×3, first 2 shown]
	s_waitcnt lgkmcnt(0)
	s_barrier
	buffer_gl0_inv
	ds_store_2addr_b32 v81, v26, v28 offset1:100
	v_sub_f32_e32 v26, v44, v82
	v_fma_f32 v17, v79, 2.0, -v17
	v_fma_f32 v28, v113, 2.0, -v84
	v_fma_f32 v79, v110, 2.0, -v47
	v_fma_f32 v43, v111, 2.0, -v27
	v_fma_f32 v25, v80, 2.0, -v25
	v_fma_f32 v80, v112, 2.0, -v49
	v_fma_f32 v50, v96, 2.0, -v50
	v_fma_f32 v44, v44, 2.0, -v26
	v_sub_f32_e32 v28, v79, v28
	v_add_f32_e32 v22, v47, v22
	s_delay_alu instid0(VALU_DEP_4) | instskip(NEXT) | instid1(VALU_DEP_4)
	v_dual_sub_f32 v17, v43, v17 :: v_dual_sub_f32 v50, v80, v50
	v_sub_f32_e32 v25, v44, v25
	v_add_f32_e32 v21, v26, v21
	v_fma_f32 v79, v79, 2.0, -v28
	v_fma_f32 v47, v47, 2.0, -v22
	v_fma_f32 v43, v43, 2.0, -v17
	v_fma_f32 v27, v27, 2.0, -v20
	v_fma_f32 v80, v80, 2.0, -v50
	v_fma_f32 v49, v49, 2.0, -v48
	v_fma_f32 v44, v44, 2.0, -v25
	v_fma_f32 v26, v26, 2.0, -v21
	ds_store_2addr_b32 v45, v83, v19 offset0:72 offset1:172
	ds_store_2addr_b32 v85, v43, v27 offset1:100
	ds_store_2addr_b32 v87, v17, v20 offset0:72 offset1:172
	ds_store_2addr_b32 v46, v44, v26 offset1:100
	;; [unrolled: 2-line block ×4, first 2 shown]
	ds_store_2addr_b32 v24, v50, v48 offset0:72 offset1:172
	v_mul_i32_i24_e32 v15, 3, v4
	v_add_nc_u32_e32 v23, 0xffffffb0, v0
	v_cmp_gt_u32_e64 s0, 0x50, v0
	v_mul_u32_u24_e32 v17, 3, v0
	s_waitcnt lgkmcnt(0)
	v_lshlrev_b64 v[21:22], 3, v[15:16]
	s_barrier
	v_cndmask_b32_e64 v103, v23, v5, s0
	v_lshlrev_b32_e32 v43, 3, v17
	buffer_gl0_inv
	v_add_co_u32 v25, s0, s4, v21
	v_mul_i32_i24_e32 v15, 3, v103
	global_load_b128 v[17:20], v43, s[4:5] offset:3120
	v_add_co_ci_u32_e64 v26, s0, s5, v22, s0
	v_lshlrev_b64 v[27:28], 3, v[15:16]
	s_clause 0x2
	global_load_b128 v[21:24], v[25:26], off offset:3120
	global_load_b64 v[79:80], v43, s[4:5] offset:3136
	global_load_b64 v[81:82], v[25:26], off offset:3136
	v_add_co_u32 v47, s0, s4, v27
	s_delay_alu instid0(VALU_DEP_1) | instskip(SKIP_1) | instid1(VALU_DEP_1)
	v_add_co_ci_u32_e64 v48, s0, s5, v28, s0
	v_add_co_u32 v15, s0, s4, v43
	v_add_co_ci_u32_e64 v88, null, s5, 0, s0
	global_load_b128 v[25:28], v[47:48], off offset:3120
	v_add_co_u32 v43, s0, 0x1000, v15
	s_delay_alu instid0(VALU_DEP_1) | instskip(SKIP_1) | instid1(VALU_DEP_1)
	v_add_co_ci_u32_e64 v44, s0, 0, v88, s0
	v_add_co_u32 v49, s0, 0x13b0, v15
	v_add_co_ci_u32_e64 v50, s0, 0, v88, s0
	s_clause 0x2
	global_load_b128 v[43:46], v[43:44], off offset:944
	global_load_b64 v[83:84], v[47:48], off offset:3136
	global_load_b64 v[85:86], v[49:50], off offset:16
	v_add_co_u32 v47, s0, 0x2000, v15
	s_delay_alu instid0(VALU_DEP_1) | instskip(SKIP_1) | instid1(VALU_DEP_1)
	v_add_co_ci_u32_e64 v48, s0, 0, v88, s0
	v_add_co_u32 v87, s0, 0x22b0, v15
	v_add_co_ci_u32_e64 v88, s0, 0, v88, s0
	global_load_b128 v[47:50], v[47:48], off offset:688
	v_cmp_lt_u32_e64 s0, 0x4f, v0
	global_load_b64 v[87:88], v[87:88], off offset:16
	ds_load_b32 v15, v32
	ds_load_2addr_b32 v[89:90], v13 offset0:32 offset1:192
	ds_load_2addr_stride64_b32 v[91:92], v38 offset1:15
	ds_load_2addr_b32 v[93:94], v31 offset0:32 offset1:192
	ds_load_2addr_b32 v[95:96], v33 offset0:32 offset1:192
	ds_load_b32 v13, v35
	ds_load_b32 v104, v40
	;; [unrolled: 1-line block ×3, first 2 shown]
	s_waitcnt vmcnt(9) lgkmcnt(7)
	v_mul_f32_e32 v105, v15, v18
	v_mul_f32_e32 v106, v99, v18
	s_waitcnt lgkmcnt(6)
	v_mul_f32_e32 v18, v90, v20
	s_delay_alu instid0(VALU_DEP_3) | instskip(NEXT) | instid1(VALU_DEP_3)
	v_fma_f32 v99, v99, v17, -v105
	v_dual_fmac_f32 v106, v15, v17 :: v_dual_mul_f32 v15, v52, v20
	s_delay_alu instid0(VALU_DEP_3)
	v_fma_f32 v52, v52, v19, -v18
	s_waitcnt vmcnt(8) lgkmcnt(5)
	v_mul_f32_e32 v20, v92, v22
	s_waitcnt lgkmcnt(4)
	v_dual_mul_f32 v105, v30, v22 :: v_dual_mul_f32 v22, v93, v24
	ds_load_2addr_b32 v[17:18], v11 offset0:32 offset1:192
	v_mul_f32_e32 v11, v71, v24
	v_fma_f32 v24, v30, v21, -v20
	v_fmac_f32_e32 v105, v92, v21
	v_fma_f32 v30, v71, v23, -v22
	ds_load_2addr_b32 v[21:22], v34 offset0:32 offset1:192
	v_fmac_f32_e32 v15, v90, v19
	ds_load_2addr_b32 v[19:20], v36 offset0:32 offset1:192
	v_fmac_f32_e32 v11, v93, v23
	s_waitcnt vmcnt(7) lgkmcnt(6)
	v_mul_f32_e32 v23, v95, v80
	s_waitcnt vmcnt(6)
	v_dual_mul_f32 v71, v53, v80 :: v_dual_mul_f32 v80, v96, v82
	s_waitcnt vmcnt(5)
	v_mul_f32_e32 v90, v94, v28
	v_mul_f32_e32 v82, v54, v82
	v_fma_f32 v23, v53, v79, -v23
	v_fmac_f32_e32 v71, v95, v79
	v_fma_f32 v53, v54, v81, -v80
	v_fma_f32 v54, v72, v27, -v90
	v_mul_f32_e32 v28, v72, v28
	v_fmac_f32_e32 v82, v96, v81
	s_waitcnt lgkmcnt(2)
	v_mul_f32_e32 v72, v17, v26
	s_waitcnt vmcnt(4)
	v_dual_mul_f32 v26, v73, v26 :: v_dual_mul_f32 v79, v18, v44
	v_mul_f32_e32 v44, v74, v44
	v_fmac_f32_e32 v28, v94, v27
	v_fma_f32 v27, v73, v25, -v72
	s_delay_alu instid0(VALU_DEP_4)
	v_fmac_f32_e32 v26, v17, v25
	v_fma_f32 v17, v74, v43, -v79
	v_dual_fmac_f32 v44, v18, v43 :: v_dual_mul_f32 v25, v77, v46
	s_waitcnt vmcnt(3) lgkmcnt(1)
	v_mul_f32_e32 v43, v21, v84
	s_waitcnt vmcnt(2)
	v_mul_f32_e32 v73, v22, v86
	s_waitcnt lgkmcnt(0)
	v_mul_f32_e32 v18, v19, v46
	ds_load_b32 v46, v38 offset:12160
	v_fmac_f32_e32 v25, v19, v45
	v_fma_f32 v19, v75, v83, -v43
	v_fma_f32 v43, v76, v85, -v73
	s_waitcnt vmcnt(1)
	v_mul_f32_e32 v73, v20, v50
	v_mul_f32_e32 v50, v78, v50
	;; [unrolled: 1-line block ×3, first 2 shown]
	v_fma_f32 v18, v77, v45, -v18
	v_mul_f32_e32 v45, v89, v48
	v_mul_f32_e32 v48, v51, v48
	v_fmac_f32_e32 v50, v20, v49
	ds_load_b32 v20, v39
	v_dual_fmac_f32 v72, v21, v83 :: v_dual_mul_f32 v21, v76, v86
	v_fmac_f32_e32 v48, v89, v47
	v_dual_sub_f32 v30, v97, v30 :: v_dual_sub_f32 v53, v24, v53
	v_sub_f32_e32 v23, v99, v23
	s_delay_alu instid0(VALU_DEP_4)
	v_fmac_f32_e32 v21, v22, v85
	v_fma_f32 v22, v51, v47, -v45
	v_dual_sub_f32 v47, v29, v52 :: v_dual_sub_f32 v52, v106, v71
	v_fma_f32 v45, v78, v49, -v73
	s_waitcnt vmcnt(0)
	v_mul_f32_e32 v51, v102, v88
	v_sub_f32_e32 v15, v91, v15
	v_sub_f32_e32 v11, v107, v11
	v_fma_f32 v73, v106, 2.0, -v52
	v_sub_f32_e32 v74, v105, v82
	v_fma_f32 v75, v97, 2.0, -v30
	v_fma_f32 v24, v24, 2.0, -v53
	v_sub_f32_e32 v52, v47, v52
	s_waitcnt lgkmcnt(1)
	v_mul_f32_e32 v49, v46, v88
	v_fma_f32 v29, v29, 2.0, -v47
	v_fma_f32 v71, v99, 2.0, -v23
	v_fmac_f32_e32 v51, v46, v87
	v_fma_f32 v46, v91, 2.0, -v15
	v_fma_f32 v76, v107, 2.0, -v11
	;; [unrolled: 1-line block ×3, first 2 shown]
	v_add_f32_e32 v78, v15, v23
	v_sub_f32_e32 v23, v75, v24
	v_fma_f32 v24, v47, 2.0, -v52
	v_sub_f32_e32 v47, v101, v54
	s_waitcnt lgkmcnt(0)
	v_dual_sub_f32 v19, v27, v19 :: v_dual_sub_f32 v28, v20, v28
	v_sub_f32_e32 v72, v26, v72
	v_fma_f32 v49, v102, v87, -v49
	v_sub_f32_e32 v73, v46, v73
	v_dual_sub_f32 v77, v76, v77 :: v_dual_sub_f32 v54, v30, v74
	v_fma_f32 v74, v101, 2.0, -v47
	v_fma_f32 v27, v27, 2.0, -v19
	;; [unrolled: 1-line block ×4, first 2 shown]
	v_add_f32_e32 v80, v28, v19
	v_sub_f32_e32 v21, v44, v21
	v_sub_f32_e32 v71, v29, v71
	v_fma_f32 v79, v46, 2.0, -v73
	v_fma_f32 v46, v75, 2.0, -v23
	v_fma_f32 v75, v76, 2.0, -v77
	v_sub_f32_e32 v27, v74, v27
	v_sub_f32_e32 v18, v98, v18
	;; [unrolled: 1-line block ×5, first 2 shown]
	v_fma_f32 v82, v28, 2.0, -v80
	v_sub_f32_e32 v28, v100, v45
	v_sub_f32_e32 v45, v22, v49
	v_fma_f32 v19, v44, 2.0, -v21
	v_sub_f32_e32 v44, v104, v50
	v_fma_f32 v29, v29, 2.0, -v71
	v_fma_f32 v43, v74, 2.0, -v27
	v_sub_f32_e32 v25, v13, v25
	v_fma_f32 v74, v98, 2.0, -v18
	v_fma_f32 v17, v17, 2.0, -v26
	;; [unrolled: 1-line block ×4, first 2 shown]
	v_sub_f32_e32 v47, v48, v51
	v_fma_f32 v49, v100, 2.0, -v28
	v_fma_f32 v22, v22, 2.0, -v45
	v_add_f32_e32 v84, v44, v45
	v_fma_f32 v13, v13, 2.0, -v25
	v_sub_f32_e32 v17, v74, v17
	v_fma_f32 v50, v104, 2.0, -v44
	v_fma_f32 v48, v48, 2.0, -v47
	v_add_f32_e32 v51, v25, v26
	v_sub_f32_e32 v22, v49, v22
	s_barrier
	buffer_gl0_inv
	ds_store_b32 v38, v29
	ds_store_b32 v38, v24 offset:1600
	ds_store_b32 v38, v71 offset:3200
	;; [unrolled: 1-line block ×3, first 2 shown]
	v_cndmask_b32_e64 v24, 0, 0x1900, s0
	v_lshlrev_b32_e32 v29, 2, v103
	v_dual_sub_f32 v21, v18, v21 :: v_dual_sub_f32 v26, v28, v47
	v_fma_f32 v87, v44, 2.0, -v84
	v_lshl_add_u32 v44, v0, 2, 0
	v_fma_f32 v30, v30, 2.0, -v54
	v_sub_f32_e32 v83, v13, v19
	v_fma_f32 v19, v74, 2.0, -v17
	v_sub_f32_e32 v74, v50, v48
	v_fma_f32 v85, v25, 2.0, -v51
	v_fma_f32 v25, v49, 2.0, -v22
	v_add3_u32 v52, 0, v24, v29
	v_lshl_add_u32 v49, v10, 2, 0
	v_fma_f32 v18, v18, 2.0, -v21
	v_fma_f32 v28, v28, 2.0, -v26
	ds_store_b32 v1, v46
	ds_store_b32 v1, v30 offset:1600
	ds_store_b32 v1, v23 offset:3200
	ds_store_b32 v1, v54 offset:4800
	v_add_nc_u32_e32 v54, 0x1a00, v44
	v_fma_f32 v86, v50, 2.0, -v74
	v_add_nc_u32_e32 v71, 0x2000, v44
	v_add_nc_u32_e32 v88, 0x2600, v44
	;; [unrolled: 1-line block ×3, first 2 shown]
	ds_store_b32 v52, v43
	ds_store_b32 v52, v20 offset:1600
	ds_store_b32 v52, v27 offset:3200
	;; [unrolled: 1-line block ×3, first 2 shown]
	ds_store_2addr_b32 v54, v19, v25 offset0:16 offset1:176
	ds_store_2addr_b32 v71, v18, v28 offset0:32 offset1:192
	;; [unrolled: 1-line block ×4, first 2 shown]
	s_waitcnt lgkmcnt(0)
	s_barrier
	buffer_gl0_inv
	ds_load_2addr_stride64_b32 v[17:18], v38 offset1:25
	ds_load_2addr_b32 v[19:20], v31 offset0:32 offset1:192
	ds_load_2addr_b32 v[21:22], v36 offset0:32 offset1:192
	;; [unrolled: 1-line block ×3, first 2 shown]
	ds_load_b32 v30, v41
	ds_load_2addr_b32 v[25:26], v34 offset0:32 offset1:192
	v_lshl_add_u32 v50, v14, 2, 0
	ds_load_b32 v45, v49
	ds_load_b32 v29, v35
	ds_load_b32 v43, v32
	ds_load_b32 v46, v42
	ds_load_b32 v27, v1
	ds_load_b32 v47, v50
	ds_load_b32 v44, v40
	ds_load_b32 v28, v39
	ds_load_b32 v48, v38 offset:12160
	v_add_f32_e32 v53, v11, v53
	v_fma_f32 v15, v15, 2.0, -v78
	v_fma_f32 v13, v13, 2.0, -v83
	s_waitcnt lgkmcnt(0)
	s_barrier
	v_fma_f32 v11, v11, 2.0, -v53
	buffer_gl0_inv
	ds_store_b32 v38, v79
	ds_store_b32 v38, v15 offset:1600
	ds_store_b32 v38, v73 offset:3200
	ds_store_b32 v38, v78 offset:4800
	ds_store_b32 v1, v75
	ds_store_b32 v1, v11 offset:1600
	ds_store_b32 v1, v77 offset:3200
	ds_store_b32 v1, v53 offset:4800
	;; [unrolled: 4-line block ×3, first 2 shown]
	ds_store_2addr_b32 v54, v13, v86 offset0:16 offset1:176
	ds_store_2addr_b32 v71, v85, v87 offset0:32 offset1:192
	;; [unrolled: 1-line block ×4, first 2 shown]
	s_waitcnt lgkmcnt(0)
	s_barrier
	buffer_gl0_inv
	s_and_saveexec_b32 s0, vcc_lo
	s_cbranch_execz .LBB0_15
; %bb.14:
	v_mov_b32_e32 v15, v16
	v_mov_b32_e32 v13, v16
	v_mad_u64_u32 v[81:82], null, s8, v63, 0
	v_mov_b32_e32 v11, v16
	s_delay_alu instid0(VALU_DEP_4) | instskip(NEXT) | instid1(VALU_DEP_4)
	v_lshlrev_b64 v[14:15], 3, v[14:15]
	v_lshlrev_b64 v[12:13], 3, v[12:13]
	v_mad_u64_u32 v[89:90], null, s8, v60, 0
	v_mad_u64_u32 v[85:86], null, s8, v65, 0
	s_delay_alu instid0(VALU_DEP_4) | instskip(SKIP_3) | instid1(VALU_DEP_4)
	v_add_co_u32 v1, vcc_lo, s4, v14
	v_add_co_ci_u32_e32 v14, vcc_lo, s5, v15, vcc_lo
	v_add_co_u32 v51, vcc_lo, s4, v12
	v_add_co_ci_u32_e32 v52, vcc_lo, s5, v13, vcc_lo
	v_add_co_u32 v12, vcc_lo, 0x3000, v1
	s_delay_alu instid0(VALU_DEP_4) | instskip(SKIP_4) | instid1(VALU_DEP_4)
	v_add_co_ci_u32_e32 v13, vcc_lo, 0, v14, vcc_lo
	v_lshlrev_b64 v[14:15], 3, v[10:11]
	v_add_co_u32 v51, vcc_lo, 0x3000, v51
	v_mov_b32_e32 v10, v16
	v_add_co_ci_u32_e32 v52, vcc_lo, 0, v52, vcc_lo
	v_add_co_u32 v1, vcc_lo, s4, v14
	v_add_co_ci_u32_e32 v15, vcc_lo, s5, v15, vcc_lo
	s_delay_alu instid0(VALU_DEP_4) | instskip(NEXT) | instid1(VALU_DEP_3)
	v_lshlrev_b64 v[10:11], 3, v[9:10]
	v_add_co_u32 v14, vcc_lo, 0x3000, v1
	v_mov_b32_e32 v9, v16
	s_delay_alu instid0(VALU_DEP_4) | instskip(NEXT) | instid1(VALU_DEP_4)
	v_add_co_ci_u32_e32 v15, vcc_lo, 0, v15, vcc_lo
	v_add_co_u32 v1, vcc_lo, s4, v10
	v_add_co_ci_u32_e32 v11, vcc_lo, s5, v11, vcc_lo
	s_delay_alu instid0(VALU_DEP_4) | instskip(SKIP_1) | instid1(VALU_DEP_4)
	v_lshlrev_b64 v[9:10], 3, v[8:9]
	v_mov_b32_e32 v8, v16
	v_add_co_u32 v53, vcc_lo, 0x3000, v1
	s_delay_alu instid0(VALU_DEP_4) | instskip(NEXT) | instid1(VALU_DEP_4)
	v_add_co_ci_u32_e32 v54, vcc_lo, 0, v11, vcc_lo
	v_add_co_u32 v1, vcc_lo, s4, v9
	s_delay_alu instid0(VALU_DEP_4) | instskip(SKIP_2) | instid1(VALU_DEP_4)
	v_lshlrev_b64 v[8:9], 3, v[7:8]
	v_mov_b32_e32 v7, v16
	v_add_co_ci_u32_e32 v11, vcc_lo, s5, v10, vcc_lo
	v_add_co_u32 v10, vcc_lo, 0x3000, v1
	s_delay_alu instid0(VALU_DEP_3) | instskip(NEXT) | instid1(VALU_DEP_3)
	v_lshlrev_b64 v[6:7], 3, v[6:7]
	v_add_co_ci_u32_e32 v11, vcc_lo, 0, v11, vcc_lo
	v_add_co_u32 v1, vcc_lo, s4, v8
	v_add_co_ci_u32_e32 v8, vcc_lo, s5, v9, vcc_lo
	s_delay_alu instid0(VALU_DEP_4) | instskip(SKIP_1) | instid1(VALU_DEP_4)
	v_add_co_u32 v6, vcc_lo, s4, v6
	v_add_co_ci_u32_e32 v9, vcc_lo, s5, v7, vcc_lo
	v_add_co_u32 v7, vcc_lo, 0x3000, v1
	s_delay_alu instid0(VALU_DEP_4) | instskip(NEXT) | instid1(VALU_DEP_4)
	v_add_co_ci_u32_e32 v8, vcc_lo, 0, v8, vcc_lo
	v_add_co_u32 v71, vcc_lo, 0x3000, v6
	v_mov_b32_e32 v6, v16
	v_add_co_ci_u32_e32 v72, vcc_lo, 0, v9, vcc_lo
	s_clause 0x3
	global_load_b64 v[12:13], v[12:13], off offset:432
	global_load_b64 v[51:52], v[51:52], off offset:432
	;; [unrolled: 1-line block ×4, first 2 shown]
	v_mov_b32_e32 v1, v16
	v_lshlrev_b64 v[73:74], 3, v[5:6]
	s_clause 0x2
	global_load_b64 v[9:10], v[10:11], off offset:432
	global_load_b64 v[6:7], v[7:8], off offset:432
	;; [unrolled: 1-line block ×3, first 2 shown]
	v_mov_b32_e32 v5, v16
	v_mad_u64_u32 v[83:84], null, s8, v67, 0
	v_lshlrev_b64 v[77:78], 3, v[0:1]
	v_add_co_u32 v8, vcc_lo, s4, v73
	v_add_co_ci_u32_e32 v11, vcc_lo, s5, v74, vcc_lo
	v_lshlrev_b64 v[73:74], 3, v[4:5]
	s_delay_alu instid0(VALU_DEP_3) | instskip(NEXT) | instid1(VALU_DEP_3)
	v_add_co_u32 v75, vcc_lo, 0x3000, v8
	v_add_co_ci_u32_e32 v76, vcc_lo, 0, v11, vcc_lo
	v_mov_b32_e32 v16, v82
	s_delay_alu instid0(VALU_DEP_4) | instskip(SKIP_3) | instid1(VALU_DEP_4)
	v_add_co_u32 v1, vcc_lo, s4, v73
	v_add_co_ci_u32_e32 v5, vcc_lo, s5, v74, vcc_lo
	v_add_co_u32 v8, vcc_lo, s4, v77
	v_add_co_ci_u32_e32 v11, vcc_lo, s5, v78, vcc_lo
	v_add_co_u32 v73, vcc_lo, 0x3000, v1
	s_delay_alu instid0(VALU_DEP_4) | instskip(NEXT) | instid1(VALU_DEP_4)
	v_add_co_ci_u32_e32 v74, vcc_lo, 0, v5, vcc_lo
	v_add_co_u32 v77, vcc_lo, 0x3000, v8
	s_delay_alu instid0(VALU_DEP_4)
	v_add_co_ci_u32_e32 v78, vcc_lo, 0, v11, vcc_lo
	s_clause 0x2
	global_load_b64 v[75:76], v[75:76], off offset:432
	global_load_b64 v[73:74], v[73:74], off offset:432
	;; [unrolled: 1-line block ×3, first 2 shown]
	v_mul_i32_i24_e32 v8, 0xffffffdc, v4
	ds_load_b32 v99, v50
	ds_load_b32 v100, v38 offset:12160
	ds_load_2addr_b32 v[4:5], v34 offset0:32 offset1:192
	ds_load_2addr_b32 v[33:34], v33 offset0:32 offset1:192
	;; [unrolled: 1-line block ×3, first 2 shown]
	ds_load_b32 v101, v49
	ds_load_b32 v102, v35
	;; [unrolled: 1-line block ×7, first 2 shown]
	ds_load_2addr_b32 v[31:32], v31 offset0:32 offset1:192
	ds_load_2addr_stride64_b32 v[35:36], v38 offset1:25
	v_mad_u64_u32 v[38:39], null, s8, v0, 0
	v_mad_u64_u32 v[40:41], null, s8, v64, 0
	;; [unrolled: 1-line block ×3, first 2 shown]
	v_add_co_u32 v108, vcc_lo, s10, v2
	v_mad_u64_u32 v[1:2], null, s8, v69, 0
	v_add_co_ci_u32_e32 v109, vcc_lo, s11, v3, vcc_lo
	v_dual_mov_b32 v3, v39 :: v_dual_add_nc_u32 v110, v37, v8
	v_dual_mov_b32 v8, v41 :: v_dual_mov_b32 v11, v50
	v_mul_hi_u32 v97, 0x51eb851f, v62
	s_delay_alu instid0(VALU_DEP_3)
	v_mad_u64_u32 v[93:94], null, s9, v69, v[2:3]
	v_mad_u64_u32 v[87:88], null, s8, v68, 0
	;; [unrolled: 1-line block ×3, first 2 shown]
	v_mul_hi_u32 v98, 0x51eb851f, v61
	v_mov_b32_e32 v39, v86
	s_waitcnt lgkmcnt(11)
	v_mad_u64_u32 v[41:42], null, s9, v0, v[3:4]
	v_mov_b32_e32 v2, v90
	s_waitcnt vmcnt(5)
	v_mad_u64_u32 v[94:95], null, s9, v64, v[8:9]
	v_mad_u64_u32 v[95:96], null, s9, v70, v[11:12]
	;; [unrolled: 1-line block ×3, first 2 shown]
	v_mov_b32_e32 v37, v84
	v_lshrrev_b32_e32 v8, 9, v97
	v_mad_u64_u32 v[96:97], null, s9, v65, v[39:40]
	ds_load_b32 v16, v110
	v_lshrrev_b32_e32 v11, 9, v98
	v_mov_b32_e32 v82, v69
	v_mad_u64_u32 v[63:64], null, s9, v67, v[37:38]
	v_mov_b32_e32 v3, v92
	v_mad_u32_u24 v110, 0x640, v8, v62
	v_dual_mov_b32 v0, v88 :: v_dual_mov_b32 v39, v41
	v_mov_b32_e32 v86, v96
	s_delay_alu instid0(VALU_DEP_3) | instskip(NEXT) | instid1(VALU_DEP_3)
	v_dual_mov_b32 v50, v95 :: v_dual_add_nc_u32 v111, 0x640, v110
	v_mad_u64_u32 v[64:65], null, s9, v68, v[0:1]
	v_mov_b32_e32 v84, v63
	v_mad_u64_u32 v[67:68], null, s9, v60, v[2:3]
	v_mov_b32_e32 v2, v93
	v_mad_u64_u32 v[97:98], null, s9, v66, v[3:4]
	v_mad_u32_u24 v98, 0x640, v11, v61
	v_mad_u64_u32 v[60:61], null, s8, v110, 0
	v_lshlrev_b64 v[37:38], 3, v[38:39]
	v_dual_mov_b32 v41, v94 :: v_dual_mov_b32 v88, v64
	v_lshlrev_b64 v[0:1], 3, v[1:2]
	v_mad_u64_u32 v[62:63], null, s8, v111, 0
	s_delay_alu instid0(VALU_DEP_3)
	v_lshlrev_b64 v[2:3], 3, v[40:41]
	v_add_co_u32 v37, vcc_lo, v108, v37
	v_mov_b32_e32 v8, v61
	v_add_co_ci_u32_e32 v38, vcc_lo, v109, v38, vcc_lo
	v_lshlrev_b64 v[39:40], 3, v[49:50]
	v_add_co_u32 v0, vcc_lo, v108, v0
	v_mad_u64_u32 v[65:66], null, s8, v98, 0
	v_add_nc_u32_e32 v112, 0x640, v98
	v_add_co_ci_u32_e32 v1, vcc_lo, v109, v1, vcc_lo
	v_lshlrev_b64 v[41:42], 3, v[81:82]
	v_add_co_u32 v2, vcc_lo, v108, v2
	v_lshlrev_b64 v[81:82], 3, v[87:88]
	v_mad_u64_u32 v[87:88], null, s9, v110, v[8:9]
	v_add_co_ci_u32_e32 v3, vcc_lo, v109, v3, vcc_lo
	v_lshlrev_b64 v[49:50], 3, v[83:84]
	v_add_co_u32 v39, vcc_lo, v108, v39
	v_dual_mov_b32 v90, v67 :: v_dual_mov_b32 v11, v66
	v_mad_u64_u32 v[67:68], null, s8, v112, 0
	v_mov_b32_e32 v8, v63
	v_add_co_ci_u32_e32 v40, vcc_lo, v109, v40, vcc_lo
	v_lshlrev_b64 v[69:70], 3, v[85:86]
	v_add_co_u32 v41, vcc_lo, v108, v41
	v_add_co_ci_u32_e32 v42, vcc_lo, v109, v42, vcc_lo
	v_mov_b32_e32 v92, v97
	v_add_co_u32 v49, vcc_lo, v108, v49
	v_mov_b32_e32 v61, v87
	v_mul_f32_e32 v66, v51, v5
	v_mul_f32_e32 v5, v52, v5
	v_mad_u64_u32 v[63:64], null, s9, v111, v[8:9]
	s_waitcnt lgkmcnt(11)
	v_dual_mul_f32 v8, v12, v100 :: v_dual_mul_f32 v87, v53, v34
	v_add_co_ci_u32_e32 v50, vcc_lo, v109, v50, vcc_lo
	v_lshlrev_b64 v[83:84], 3, v[89:90]
	v_mad_u64_u32 v[88:89], null, s9, v98, v[11:12]
	v_mov_b32_e32 v11, v68
	v_add_co_u32 v68, vcc_lo, v108, v69
	v_lshlrev_b64 v[85:86], 3, v[91:92]
	v_add_co_ci_u32_e32 v69, vcc_lo, v109, v70, vcc_lo
	v_mul_f32_e32 v64, v13, v100
	v_dual_mul_f32 v70, v14, v4 :: v_dual_mul_f32 v89, v9, v33
	s_waitcnt vmcnt(3) lgkmcnt(10)
	v_dual_mul_f32 v34, v54, v34 :: v_dual_mul_f32 v91, v71, v79
	v_dual_mul_f32 v90, v6, v80 :: v_dual_fmac_f32 v87, v24, v54
	v_mul_f32_e32 v80, v7, v80
	s_delay_alu instid0(VALU_DEP_3)
	v_dual_fmac_f32 v8, v48, v13 :: v_dual_fmac_f32 v91, v21, v72
	v_fma_f32 v13, v26, v51, -v5
	s_waitcnt vmcnt(1) lgkmcnt(2)
	v_dual_mul_f32 v4, v15, v4 :: v_dual_mul_f32 v93, v73, v31
	v_mul_f32_e32 v33, v10, v33
	v_mul_f32_e32 v79, v72, v79
	s_waitcnt vmcnt(0) lgkmcnt(1)
	v_dual_mul_f32 v31, v74, v31 :: v_dual_mul_f32 v94, v77, v36
	v_fmac_f32_e32 v93, v19, v74
	v_fma_f32 v12, v48, v12, -v64
	v_fmac_f32_e32 v66, v26, v52
	v_dual_fmac_f32 v70, v25, v15 :: v_dual_sub_f32 v5, v99, v8
	v_mul_f32_e32 v36, v78, v36
	v_fma_f32 v15, v24, v53, -v34
	v_dual_fmac_f32 v89, v23, v10 :: v_dual_fmac_f32 v90, v22, v7
	v_fma_f32 v22, v22, v6, -v80
	v_dual_sub_f32 v6, v46, v13 :: v_dual_sub_f32 v13, v105, v87
	v_dual_mul_f32 v92, v75, v32 :: v_dual_sub_f32 v7, v104, v66
	v_mul_f32_e32 v32, v76, v32
	v_fma_f32 v14, v25, v14, -v4
	v_fma_f32 v10, v23, v9, -v33
	;; [unrolled: 1-line block ×4, first 2 shown]
	v_dual_sub_f32 v4, v47, v12 :: v_dual_sub_f32 v21, v102, v91
	v_sub_f32_e32 v9, v101, v70
	v_fma_f32 v31, v18, v77, -v36
	v_dual_sub_f32 v12, v30, v15 :: v_dual_sub_f32 v15, v103, v89
	v_dual_fmac_f32 v92, v20, v76 :: v_dual_sub_f32 v19, v106, v90
	v_fmac_f32_e32 v94, v18, v78
	v_fma_f32 v24, v20, v75, -v32
	s_delay_alu instid0(VALU_DEP_3) | instskip(NEXT) | instid1(VALU_DEP_3)
	v_dual_sub_f32 v20, v29, v23 :: v_dual_sub_f32 v23, v107, v92
	v_dual_sub_f32 v31, v17, v31 :: v_dual_sub_f32 v32, v35, v94
	s_waitcnt lgkmcnt(0)
	v_dual_sub_f32 v8, v45, v14 :: v_dual_sub_f32 v25, v16, v93
	v_sub_f32_e32 v18, v44, v22
	v_sub_f32_e32 v22, v28, v24
	;; [unrolled: 1-line block ×3, first 2 shown]
	v_fma_f32 v36, v35, 2.0, -v32
	v_fma_f32 v35, v17, 2.0, -v31
	;; [unrolled: 1-line block ×3, first 2 shown]
	v_add_co_u32 v81, vcc_lo, v108, v81
	v_fma_f32 v16, v27, 2.0, -v24
	v_fma_f32 v27, v107, 2.0, -v23
	;; [unrolled: 1-line block ×3, first 2 shown]
	v_add_co_ci_u32_e32 v82, vcc_lo, v109, v82, vcc_lo
	v_fma_f32 v53, v30, 2.0, -v12
	v_fma_f32 v30, v102, 2.0, -v21
	v_fma_f32 v29, v29, 2.0, -v20
	s_clause 0x7
	global_store_b64 v[37:38], v[35:36], off
	global_store_b64 v[0:1], v[31:32], off
	;; [unrolled: 1-line block ×8, first 2 shown]
	v_mad_u64_u32 v[0:1], null, s9, v112, v[11:12]
	v_add_co_u32 v83, vcc_lo, v108, v83
	v_lshlrev_b64 v[60:61], 3, v[60:61]
	v_mad_u64_u32 v[1:2], null, s8, v59, 0
	v_mov_b32_e32 v66, v88
	v_add_co_ci_u32_e32 v84, vcc_lo, v109, v84, vcc_lo
	v_add_co_u32 v85, vcc_lo, v108, v85
	v_sub_f32_e32 v14, v43, v10
	v_lshlrev_b64 v[10:11], 3, v[62:63]
	v_mov_b32_e32 v68, v0
	v_add_co_ci_u32_e32 v86, vcc_lo, v109, v86, vcc_lo
	v_add_co_u32 v60, vcc_lo, v108, v60
	v_lshlrev_b64 v[16:17], 3, v[65:66]
	v_add_co_ci_u32_e32 v61, vcc_lo, v109, v61, vcc_lo
	v_mov_b32_e32 v0, v2
	v_add_co_u32 v10, vcc_lo, v108, v10
	v_lshlrev_b64 v[2:3], 3, v[67:68]
	v_fma_f32 v51, v45, 2.0, -v8
	v_fma_f32 v45, v106, 2.0, -v19
	;; [unrolled: 1-line block ×3, first 2 shown]
	v_add_co_ci_u32_e32 v11, vcc_lo, v109, v11, vcc_lo
	v_add_co_u32 v16, vcc_lo, v108, v16
	v_fma_f32 v71, v103, 2.0, -v15
	v_fma_f32 v70, v43, 2.0, -v14
	v_add_co_ci_u32_e32 v17, vcc_lo, v109, v17, vcc_lo
	v_fma_f32 v54, v105, 2.0, -v13
	s_clause 0x1
	global_store_b64 v[83:84], v[44:45], off
	global_store_b64 v[85:86], v[18:19], off
	v_mad_u64_u32 v[18:19], null, s9, v59, v[0:1]
	v_add_co_u32 v21, vcc_lo, v108, v2
	v_add_co_ci_u32_e32 v22, vcc_lo, v109, v3, vcc_lo
	v_mul_hi_u32 v3, 0x51eb851f, v56
	s_clause 0x2
	global_store_b64 v[60:61], v[70:71], off
	global_store_b64 v[10:11], v[14:15], off
	;; [unrolled: 1-line block ×3, first 2 shown]
	v_mad_u64_u32 v[10:11], null, s8, v55, 0
	v_mad_u64_u32 v[19:20], null, s8, v58, 0
	v_mov_b32_e32 v2, v18
	v_lshrrev_b32_e32 v16, 9, v3
	v_fma_f32 v52, v101, 2.0, -v9
	v_fma_f32 v33, v47, 2.0, -v4
	v_mov_b32_e32 v3, v11
	global_store_b64 v[21:22], v[12:13], off
	v_mad_u64_u32 v[12:13], null, s8, v57, 0
	v_lshlrev_b64 v[0:1], 3, v[1:2]
	v_mov_b32_e32 v2, v20
	v_mad_u32_u24 v23, 0x640, v16, v56
	v_fma_f32 v47, v104, 2.0, -v7
	v_fma_f32 v46, v46, 2.0, -v6
	;; [unrolled: 1-line block ×3, first 2 shown]
	v_mad_u64_u32 v[14:15], null, s9, v58, v[2:3]
	v_mad_u64_u32 v[15:16], null, s9, v55, v[3:4]
	v_mov_b32_e32 v2, v13
	v_mad_u64_u32 v[16:17], null, s8, v23, 0
	v_add_nc_u32_e32 v24, 0x640, v23
	v_add_co_u32 v0, vcc_lo, v108, v0
	v_add_co_ci_u32_e32 v1, vcc_lo, v109, v1, vcc_lo
	v_mad_u64_u32 v[21:22], null, s9, v57, v[2:3]
	s_delay_alu instid0(VALU_DEP_4) | instskip(SKIP_4) | instid1(VALU_DEP_3)
	v_mad_u64_u32 v[2:3], null, s8, v24, 0
	global_store_b64 v[0:1], v[51:52], off
	v_mov_b32_e32 v0, v17
	v_dual_mov_b32 v20, v14 :: v_dual_mov_b32 v11, v15
	v_mov_b32_e32 v13, v21
	v_mad_u64_u32 v[14:15], null, s9, v23, v[0:1]
	v_mov_b32_e32 v0, v3
	s_delay_alu instid0(VALU_DEP_4) | instskip(SKIP_1) | instid1(VALU_DEP_3)
	v_lshlrev_b64 v[17:18], 3, v[19:20]
	v_lshlrev_b64 v[10:11], 3, v[10:11]
	v_mad_u64_u32 v[21:22], null, s9, v24, v[0:1]
	s_delay_alu instid0(VALU_DEP_3)
	v_add_co_u32 v19, vcc_lo, v108, v17
	v_mov_b32_e32 v17, v14
	v_lshlrev_b64 v[0:1], 3, v[12:13]
	v_add_co_ci_u32_e32 v20, vcc_lo, v109, v18, vcc_lo
	v_mov_b32_e32 v3, v21
	v_add_co_u32 v10, vcc_lo, v108, v10
	v_lshlrev_b64 v[12:13], 3, v[16:17]
	v_add_co_ci_u32_e32 v11, vcc_lo, v109, v11, vcc_lo
	v_add_co_u32 v0, vcc_lo, v108, v0
	v_lshlrev_b64 v[2:3], 3, v[2:3]
	v_add_co_ci_u32_e32 v1, vcc_lo, v109, v1, vcc_lo
	v_add_co_u32 v12, vcc_lo, v108, v12
	v_add_co_ci_u32_e32 v13, vcc_lo, v109, v13, vcc_lo
	s_delay_alu instid0(VALU_DEP_4)
	v_add_co_u32 v2, vcc_lo, v108, v2
	v_add_co_ci_u32_e32 v3, vcc_lo, v109, v3, vcc_lo
	s_clause 0x4
	global_store_b64 v[19:20], v[8:9], off
	global_store_b64 v[10:11], v[46:47], off
	;; [unrolled: 1-line block ×5, first 2 shown]
.LBB0_15:
	s_nop 0
	s_sendmsg sendmsg(MSG_DEALLOC_VGPRS)
	s_endpgm
	.section	.rodata,"a",@progbits
	.p2align	6, 0x0
	.amdhsa_kernel fft_rtc_fwd_len3200_factors_10_10_4_4_2_wgs_160_tpt_160_halfLds_sp_ip_CI_sbrr_dirReg
		.amdhsa_group_segment_fixed_size 0
		.amdhsa_private_segment_fixed_size 0
		.amdhsa_kernarg_size 88
		.amdhsa_user_sgpr_count 15
		.amdhsa_user_sgpr_dispatch_ptr 0
		.amdhsa_user_sgpr_queue_ptr 0
		.amdhsa_user_sgpr_kernarg_segment_ptr 1
		.amdhsa_user_sgpr_dispatch_id 0
		.amdhsa_user_sgpr_private_segment_size 0
		.amdhsa_wavefront_size32 1
		.amdhsa_uses_dynamic_stack 0
		.amdhsa_enable_private_segment 0
		.amdhsa_system_sgpr_workgroup_id_x 1
		.amdhsa_system_sgpr_workgroup_id_y 0
		.amdhsa_system_sgpr_workgroup_id_z 0
		.amdhsa_system_sgpr_workgroup_info 0
		.amdhsa_system_vgpr_workitem_id 0
		.amdhsa_next_free_vgpr 116
		.amdhsa_next_free_sgpr 23
		.amdhsa_reserve_vcc 1
		.amdhsa_float_round_mode_32 0
		.amdhsa_float_round_mode_16_64 0
		.amdhsa_float_denorm_mode_32 3
		.amdhsa_float_denorm_mode_16_64 3
		.amdhsa_dx10_clamp 1
		.amdhsa_ieee_mode 1
		.amdhsa_fp16_overflow 0
		.amdhsa_workgroup_processor_mode 1
		.amdhsa_memory_ordered 1
		.amdhsa_forward_progress 0
		.amdhsa_shared_vgpr_count 0
		.amdhsa_exception_fp_ieee_invalid_op 0
		.amdhsa_exception_fp_denorm_src 0
		.amdhsa_exception_fp_ieee_div_zero 0
		.amdhsa_exception_fp_ieee_overflow 0
		.amdhsa_exception_fp_ieee_underflow 0
		.amdhsa_exception_fp_ieee_inexact 0
		.amdhsa_exception_int_div_zero 0
	.end_amdhsa_kernel
	.text
.Lfunc_end0:
	.size	fft_rtc_fwd_len3200_factors_10_10_4_4_2_wgs_160_tpt_160_halfLds_sp_ip_CI_sbrr_dirReg, .Lfunc_end0-fft_rtc_fwd_len3200_factors_10_10_4_4_2_wgs_160_tpt_160_halfLds_sp_ip_CI_sbrr_dirReg
                                        ; -- End function
	.section	.AMDGPU.csdata,"",@progbits
; Kernel info:
; codeLenInByte = 14244
; NumSgprs: 25
; NumVgprs: 116
; ScratchSize: 0
; MemoryBound: 0
; FloatMode: 240
; IeeeMode: 1
; LDSByteSize: 0 bytes/workgroup (compile time only)
; SGPRBlocks: 3
; VGPRBlocks: 14
; NumSGPRsForWavesPerEU: 25
; NumVGPRsForWavesPerEU: 116
; Occupancy: 12
; WaveLimiterHint : 1
; COMPUTE_PGM_RSRC2:SCRATCH_EN: 0
; COMPUTE_PGM_RSRC2:USER_SGPR: 15
; COMPUTE_PGM_RSRC2:TRAP_HANDLER: 0
; COMPUTE_PGM_RSRC2:TGID_X_EN: 1
; COMPUTE_PGM_RSRC2:TGID_Y_EN: 0
; COMPUTE_PGM_RSRC2:TGID_Z_EN: 0
; COMPUTE_PGM_RSRC2:TIDIG_COMP_CNT: 0
	.text
	.p2alignl 7, 3214868480
	.fill 96, 4, 3214868480
	.type	__hip_cuid_2da7356333cc0932,@object ; @__hip_cuid_2da7356333cc0932
	.section	.bss,"aw",@nobits
	.globl	__hip_cuid_2da7356333cc0932
__hip_cuid_2da7356333cc0932:
	.byte	0                               ; 0x0
	.size	__hip_cuid_2da7356333cc0932, 1

	.ident	"AMD clang version 19.0.0git (https://github.com/RadeonOpenCompute/llvm-project roc-6.4.0 25133 c7fe45cf4b819c5991fe208aaa96edf142730f1d)"
	.section	".note.GNU-stack","",@progbits
	.addrsig
	.addrsig_sym __hip_cuid_2da7356333cc0932
	.amdgpu_metadata
---
amdhsa.kernels:
  - .args:
      - .actual_access:  read_only
        .address_space:  global
        .offset:         0
        .size:           8
        .value_kind:     global_buffer
      - .offset:         8
        .size:           8
        .value_kind:     by_value
      - .actual_access:  read_only
        .address_space:  global
        .offset:         16
        .size:           8
        .value_kind:     global_buffer
      - .actual_access:  read_only
        .address_space:  global
        .offset:         24
        .size:           8
        .value_kind:     global_buffer
      - .offset:         32
        .size:           8
        .value_kind:     by_value
      - .actual_access:  read_only
        .address_space:  global
        .offset:         40
        .size:           8
        .value_kind:     global_buffer
      - .actual_access:  read_only
        .address_space:  global
        .offset:         48
        .size:           8
        .value_kind:     global_buffer
      - .offset:         56
        .size:           4
        .value_kind:     by_value
      - .actual_access:  read_only
        .address_space:  global
        .offset:         64
        .size:           8
        .value_kind:     global_buffer
      - .actual_access:  read_only
        .address_space:  global
        .offset:         72
        .size:           8
        .value_kind:     global_buffer
      - .address_space:  global
        .offset:         80
        .size:           8
        .value_kind:     global_buffer
    .group_segment_fixed_size: 0
    .kernarg_segment_align: 8
    .kernarg_segment_size: 88
    .language:       OpenCL C
    .language_version:
      - 2
      - 0
    .max_flat_workgroup_size: 160
    .name:           fft_rtc_fwd_len3200_factors_10_10_4_4_2_wgs_160_tpt_160_halfLds_sp_ip_CI_sbrr_dirReg
    .private_segment_fixed_size: 0
    .sgpr_count:     25
    .sgpr_spill_count: 0
    .symbol:         fft_rtc_fwd_len3200_factors_10_10_4_4_2_wgs_160_tpt_160_halfLds_sp_ip_CI_sbrr_dirReg.kd
    .uniform_work_group_size: 1
    .uses_dynamic_stack: false
    .vgpr_count:     116
    .vgpr_spill_count: 0
    .wavefront_size: 32
    .workgroup_processor_mode: 1
amdhsa.target:   amdgcn-amd-amdhsa--gfx1100
amdhsa.version:
  - 1
  - 2
...

	.end_amdgpu_metadata
